;; amdgpu-corpus repo=ROCm/rocFFT kind=compiled arch=gfx906 opt=O3
	.text
	.amdgcn_target "amdgcn-amd-amdhsa--gfx906"
	.amdhsa_code_object_version 6
	.protected	bluestein_single_back_len1089_dim1_dp_op_CI_CI ; -- Begin function bluestein_single_back_len1089_dim1_dp_op_CI_CI
	.globl	bluestein_single_back_len1089_dim1_dp_op_CI_CI
	.p2align	8
	.type	bluestein_single_back_len1089_dim1_dp_op_CI_CI,@function
bluestein_single_back_len1089_dim1_dp_op_CI_CI: ; @bluestein_single_back_len1089_dim1_dp_op_CI_CI
; %bb.0:
	s_load_dwordx4 s[16:19], s[4:5], 0x28
	s_mov_b64 s[50:51], s[2:3]
	v_mul_u32_u24_e32 v1, 0x21e, v0
	s_mov_b64 s[48:49], s[0:1]
	v_add_u32_sdwa v4, s6, v1 dst_sel:DWORD dst_unused:UNUSED_PAD src0_sel:DWORD src1_sel:WORD_1
	v_mov_b32_e32 v5, 0
	s_add_u32 s48, s48, s7
	s_waitcnt lgkmcnt(0)
	v_cmp_gt_u64_e32 vcc, s[16:17], v[4:5]
	s_addc_u32 s49, s49, 0
	s_and_saveexec_b64 s[0:1], vcc
	s_cbranch_execz .LBB0_18
; %bb.1:
	s_load_dwordx4 s[0:3], s[4:5], 0x18
	s_load_dwordx4 s[12:15], s[4:5], 0x0
	v_mov_b32_e32 v5, v4
	v_mov_b32_e32 v25, 0xffffda30
                                        ; implicit-def: $vgpr112_vgpr113
                                        ; implicit-def: $vgpr116_vgpr117
	s_waitcnt lgkmcnt(0)
	s_load_dwordx4 s[8:11], s[0:1], 0x0
	s_movk_i32 s0, 0x79
	v_mul_lo_u16_sdwa v1, v1, s0 dst_sel:DWORD dst_unused:UNUSED_PAD src0_sel:WORD_1 src1_sel:DWORD
	v_sub_u16_e32 v255, v0, v1
	buffer_store_dword v5, off, s[48:51], 0 ; 4-byte Folded Spill
	s_nop 0
	buffer_store_dword v6, off, s[48:51], 0 offset:4 ; 4-byte Folded Spill
	s_waitcnt lgkmcnt(0)
	v_mad_u64_u32 v[0:1], s[6:7], s10, v4, 0
	v_mad_u64_u32 v[2:3], s[6:7], s8, v255, 0
	v_lshlrev_b32_e32 v18, 4, v255
	s_mul_i32 s1, s9, 0x16b0
	v_mad_u64_u32 v[4:5], s[6:7], s11, v4, v[1:2]
	v_mad_u64_u32 v[5:6], s[6:7], s9, v255, v[3:4]
	v_mov_b32_e32 v1, v4
	v_lshlrev_b64 v[0:1], 4, v[0:1]
	v_mov_b32_e32 v6, s19
	v_mov_b32_e32 v3, v5
	v_add_co_u32_e32 v4, vcc, s18, v0
	v_addc_co_u32_e32 v5, vcc, v6, v1, vcc
	v_lshlrev_b64 v[0:1], 4, v[2:3]
	s_mul_hi_u32 s6, s8, 0x16b0
	v_add_co_u32_e32 v8, vcc, v4, v0
	v_addc_co_u32_e32 v9, vcc, v5, v1, vcc
	v_mov_b32_e32 v0, s13
	v_add_co_u32_e32 v23, vcc, s12, v18
	v_addc_co_u32_e32 v24, vcc, 0, v0, vcc
	s_add_i32 s1, s6, s1
	s_mul_i32 s6, s8, 0x16b0
	v_mov_b32_e32 v0, s1
	v_add_co_u32_e32 v10, vcc, s6, v8
	v_addc_co_u32_e32 v11, vcc, v9, v0, vcc
	s_movk_i32 s7, 0x1000
	v_add_co_u32_e32 v16, vcc, s7, v23
	v_addc_co_u32_e32 v17, vcc, 0, v24, vcc
	global_load_dwordx4 v[0:3], v[8:9], off
	global_load_dwordx4 v[4:7], v[10:11], off
	v_mov_b32_e32 v8, s1
	v_add_co_u32_e32 v12, vcc, s6, v10
	v_addc_co_u32_e32 v13, vcc, v11, v8, vcc
	v_mad_u64_u32 v[21:22], s[10:11], s8, v25, v[12:13]
	s_movk_i32 s7, 0x2000
	v_add_co_u32_e32 v19, vcc, s7, v23
	s_mul_i32 s7, s9, 0xffffda30
	s_sub_i32 s7, s7, s8
	v_addc_co_u32_e32 v20, vcc, 0, v24, vcc
	v_add_u32_e32 v22, s7, v22
	global_load_dwordx4 v[8:11], v[12:13], off
	global_load_dwordx4 v[31:34], v[19:20], off offset:3424
	s_nop 0
	global_load_dwordx4 v[12:15], v[21:22], off
	global_load_dwordx4 v[27:30], v18, s[12:13]
	global_load_dwordx4 v[62:65], v18, s[12:13] offset:1936
	v_mov_b32_e32 v26, s1
	v_add_co_u32_e32 v21, vcc, s6, v21
	v_addc_co_u32_e32 v22, vcc, v22, v26, vcc
	global_load_dwordx4 v[36:39], v[21:22], off
	global_load_dwordx4 v[78:81], v[16:17], off offset:1712
	global_load_dwordx4 v[58:61], v[16:17], off offset:3648
	v_mov_b32_e32 v17, s1
	v_add_co_u32_e32 v16, vcc, s6, v21
	v_addc_co_u32_e32 v17, vcc, v22, v17, vcc
	global_load_dwordx4 v[40:43], v[16:17], off
	v_mad_u64_u32 v[16:17], s[8:9], s8, v25, v[16:17]
	s_movk_i32 s10, 0x3000
	v_add_co_u32_e32 v21, vcc, s10, v23
	v_addc_co_u32_e32 v22, vcc, 0, v24, vcc
	v_add_u32_e32 v17, s7, v17
	global_load_dwordx4 v[74:77], v[21:22], off offset:1264
	global_load_dwordx4 v[44:47], v[16:17], off
	global_load_dwordx4 v[70:73], v18, s[12:13] offset:3872
	v_mov_b32_e32 v23, s1
	v_add_co_u32_e32 v16, vcc, s6, v16
	v_addc_co_u32_e32 v17, vcc, v17, v23, vcc
	global_load_dwordx4 v[48:51], v[16:17], off
	global_load_dwordx4 v[66:69], v[19:20], off offset:1488
	v_mov_b32_e32 v19, s1
	v_add_co_u32_e32 v16, vcc, s6, v16
	v_addc_co_u32_e32 v17, vcc, v17, v19, vcc
	global_load_dwordx4 v[52:55], v[16:17], off
	global_load_dwordx4 v[82:85], v[21:22], off offset:3200
	s_waitcnt vmcnt(14)
	v_mul_f64 v[21:22], v[10:11], v[33:34]
	s_waitcnt vmcnt(12)
	v_mul_f64 v[16:17], v[2:3], v[29:30]
	v_mul_f64 v[19:20], v[0:1], v[29:30]
	s_waitcnt vmcnt(11)
	v_mul_f64 v[25:26], v[14:15], v[64:65]
	;; [unrolled: 3-line block ×3, first 2 shown]
	v_fma_f64 v[0:1], v[0:1], v[27:28], v[16:17]
	buffer_store_dword v27, off, s[48:51], 0 offset:136 ; 4-byte Folded Spill
	s_nop 0
	buffer_store_dword v28, off, s[48:51], 0 offset:140 ; 4-byte Folded Spill
	buffer_store_dword v29, off, s[48:51], 0 offset:144 ; 4-byte Folded Spill
	;; [unrolled: 1-line block ×3, first 2 shown]
	v_mul_f64 v[16:17], v[6:7], v[80:81]
	v_mul_f64 v[29:30], v[38:39], v[60:61]
	s_load_dwordx4 s[8:11], s[2:3], 0x0
	v_fma_f64 v[2:3], v[2:3], v[27:28], -v[19:20]
	v_mul_f64 v[19:20], v[4:5], v[80:81]
	v_mul_f64 v[27:28], v[12:13], v[64:65]
	s_load_dwordx2 s[2:3], s[4:5], 0x38
	s_mov_b32 s5, 0xbfebb67a
	ds_write_b128 v18, v[0:3]
	v_fma_f64 v[0:1], v[4:5], v[78:79], v[16:17]
	buffer_store_dword v78, off, s[48:51], 0 offset:104 ; 4-byte Folded Spill
	s_nop 0
	buffer_store_dword v79, off, s[48:51], 0 offset:108 ; 4-byte Folded Spill
	buffer_store_dword v80, off, s[48:51], 0 offset:112 ; 4-byte Folded Spill
	buffer_store_dword v81, off, s[48:51], 0 offset:116 ; 4-byte Folded Spill
	v_fma_f64 v[4:5], v[8:9], v[31:32], v[21:22]
	buffer_store_dword v31, off, s[48:51], 0 offset:8 ; 4-byte Folded Spill
	s_nop 0
	buffer_store_dword v32, off, s[48:51], 0 offset:12 ; 4-byte Folded Spill
	buffer_store_dword v33, off, s[48:51], 0 offset:16 ; 4-byte Folded Spill
	buffer_store_dword v34, off, s[48:51], 0 offset:20 ; 4-byte Folded Spill
	;; [unrolled: 6-line block ×4, first 2 shown]
	s_waitcnt vmcnt(26)
	v_mul_f64 v[16:17], v[42:43], v[76:77]
	s_waitcnt vmcnt(24)
	v_mul_f64 v[21:22], v[46:47], v[72:73]
	;; [unrolled: 2-line block ×4, first 2 shown]
	v_fma_f64 v[36:37], v[40:41], v[74:75], v[16:17]
	v_fma_f64 v[2:3], v[6:7], v[78:79], -v[19:20]
	v_mul_f64 v[19:20], v[40:41], v[76:77]
	buffer_store_dword v74, off, s[48:51], 0 offset:88 ; 4-byte Folded Spill
	s_nop 0
	buffer_store_dword v75, off, s[48:51], 0 offset:92 ; 4-byte Folded Spill
	buffer_store_dword v76, off, s[48:51], 0 offset:96 ; 4-byte Folded Spill
	buffer_store_dword v77, off, s[48:51], 0 offset:100 ; 4-byte Folded Spill
	v_fma_f64 v[6:7], v[10:11], v[31:32], -v[23:24]
	v_mul_f64 v[23:24], v[44:45], v[72:73]
	v_fma_f64 v[40:41], v[44:45], v[70:71], v[21:22]
	buffer_store_dword v70, off, s[48:51], 0 offset:72 ; 4-byte Folded Spill
	s_nop 0
	buffer_store_dword v71, off, s[48:51], 0 offset:76 ; 4-byte Folded Spill
	buffer_store_dword v72, off, s[48:51], 0 offset:80 ; 4-byte Folded Spill
	buffer_store_dword v73, off, s[48:51], 0 offset:84 ; 4-byte Folded Spill
	v_fma_f64 v[10:11], v[14:15], v[62:63], -v[27:28]
	v_mul_f64 v[27:28], v[48:49], v[68:69]
	v_fma_f64 v[44:45], v[48:49], v[66:67], v[25:26]
	;; [unrolled: 8-line block ×3, first 2 shown]
	buffer_store_dword v82, off, s[48:51], 0 offset:120 ; 4-byte Folded Spill
	s_nop 0
	buffer_store_dword v83, off, s[48:51], 0 offset:124 ; 4-byte Folded Spill
	buffer_store_dword v84, off, s[48:51], 0 offset:128 ; 4-byte Folded Spill
	;; [unrolled: 1-line block ×3, first 2 shown]
	v_fma_f64 v[38:39], v[42:43], v[74:75], -v[19:20]
	v_fma_f64 v[42:43], v[46:47], v[70:71], -v[23:24]
	;; [unrolled: 1-line block ×4, first 2 shown]
	ds_write_b128 v18, v[0:3] offset:5808
	ds_write_b128 v18, v[4:7] offset:11616
	;; [unrolled: 1-line block ×8, first 2 shown]
	s_waitcnt vmcnt(0) lgkmcnt(0)
	s_barrier
	ds_read_b128 v[0:3], v18 offset:5808
	ds_read_b128 v[6:9], v18 offset:11616
	;; [unrolled: 1-line block ×4, first 2 shown]
	ds_read_b128 v[36:39], v18
	ds_read_b128 v[40:43], v18 offset:1936
	ds_read_b128 v[44:47], v18 offset:7744
	;; [unrolled: 1-line block ×3, first 2 shown]
	s_waitcnt lgkmcnt(6)
	v_add_f64 v[25:26], v[2:3], v[8:9]
	v_add_f64 v[23:24], v[2:3], -v[8:9]
	s_waitcnt lgkmcnt(3)
	v_add_f64 v[21:22], v[36:37], v[0:1]
	v_add_f64 v[2:3], v[38:39], v[2:3]
	;; [unrolled: 1-line block ×3, first 2 shown]
	v_add_f64 v[0:1], v[0:1], -v[6:7]
	ds_read_b128 v[52:55], v18 offset:15488
	v_add_co_u32_e32 v5, vcc, s0, v255
	v_fma_f64 v[25:26], v[25:26], -0.5, v[38:39]
	v_add_f64 v[76:77], v[21:22], v[6:7]
	s_waitcnt lgkmcnt(2)
	v_add_f64 v[21:22], v[44:45], v[10:11]
	v_add_f64 v[6:7], v[40:41], v[44:45]
	s_movk_i32 s0, 0xf2
	v_add_co_u32_e32 v4, vcc, s0, v255
	s_mov_b32 s0, 0xe8584caa
	v_add_f64 v[78:79], v[2:3], v[8:9]
	v_add_f64 v[2:3], v[46:47], v[12:13]
	s_mov_b32 s1, 0x3febb67a
	s_mov_b32 s4, s0
	v_fma_f64 v[19:20], v[19:20], -0.5, v[36:37]
	v_fma_f64 v[21:22], v[21:22], -0.5, v[40:41]
	v_add_f64 v[27:28], v[46:47], -v[12:13]
	v_fma_f64 v[82:83], v[0:1], s[4:5], v[25:26]
	v_fma_f64 v[86:87], v[0:1], s[0:1], v[25:26]
	v_add_f64 v[88:89], v[6:7], v[10:11]
	s_waitcnt lgkmcnt(0)
	v_add_f64 v[0:1], v[48:49], v[52:53]
	v_add_f64 v[6:7], v[50:51], v[54:55]
	;; [unrolled: 1-line block ×3, first 2 shown]
	v_fma_f64 v[2:3], v[2:3], -0.5, v[42:43]
	v_add_f64 v[10:11], v[44:45], -v[10:11]
	v_fma_f64 v[80:81], v[23:24], s[0:1], v[19:20]
	v_fma_f64 v[84:85], v[23:24], s[4:5], v[19:20]
	;; [unrolled: 1-line block ×4, first 2 shown]
	v_add_f64 v[19:20], v[14:15], v[48:49]
	v_fma_f64 v[0:1], v[0:1], -0.5, v[14:15]
	v_add_f64 v[14:15], v[50:51], -v[54:55]
	v_add_f64 v[21:22], v[16:17], v[50:51]
	v_fma_f64 v[6:7], v[6:7], -0.5, v[16:17]
	v_add_f64 v[16:17], v[48:49], -v[52:53]
	v_add_f64 v[90:91], v[8:9], v[12:13]
	v_fma_f64 v[98:99], v[10:11], s[0:1], v[2:3]
	v_fma_f64 v[94:95], v[10:11], s[4:5], v[2:3]
	v_add_f64 v[100:101], v[19:20], v[52:53]
	v_fma_f64 v[104:105], v[14:15], s[0:1], v[0:1]
	v_fma_f64 v[108:109], v[14:15], s[4:5], v[0:1]
	;; [unrolled: 3-line block ×3, first 2 shown]
	v_mul_lo_u16_e32 v0, 3, v255
	v_lshlrev_b32_e32 v0, 4, v0
	s_barrier
	ds_write_b128 v0, v[76:79]
	ds_write_b128 v0, v[80:83] offset:16
	buffer_store_dword v0, off, s[48:51], 0 offset:160 ; 4-byte Folded Spill
	ds_write_b128 v0, v[84:87] offset:32
	v_mul_u32_u24_e32 v0, 3, v5
	v_lshlrev_b32_e32 v0, 4, v0
	ds_write_b128 v0, v[88:91]
	ds_write_b128 v0, v[92:95] offset:16
	buffer_store_dword v0, off, s[48:51], 0 offset:168 ; 4-byte Folded Spill
	ds_write_b128 v0, v[96:99] offset:32
	v_mul_u32_u24_e32 v0, 3, v4
	s_movk_i32 s0, 0x63
	v_lshlrev_b32_e32 v0, 4, v0
	v_cmp_gt_u16_e64 s[0:1], s0, v255
	ds_write_b128 v0, v[100:103]
	ds_write_b128 v0, v[104:107] offset:16
	buffer_store_dword v0, off, s[48:51], 0 offset:176 ; 4-byte Folded Spill
	ds_write_b128 v0, v[108:111] offset:32
	s_waitcnt vmcnt(0) lgkmcnt(0)
	s_barrier
	s_and_saveexec_b64 s[4:5], s[0:1]
	s_cbranch_execz .LBB0_3
; %bb.2:
	ds_read_b128 v[76:79], v18
	ds_read_b128 v[80:83], v18 offset:1584
	ds_read_b128 v[84:87], v18 offset:3168
	;; [unrolled: 1-line block ×10, first 2 shown]
.LBB0_3:
	s_or_b64 exec, exec, s[4:5]
	s_movk_i32 s4, 0xab
	v_mul_lo_u16_sdwa v0, v255, s4 dst_sel:DWORD dst_unused:UNUSED_PAD src0_sel:BYTE_0 src1_sel:DWORD
	v_lshrrev_b16_e32 v6, 9, v0
	v_mul_lo_u16_e32 v0, 3, v6
	v_sub_u16_e32 v0, v255, v0
	v_and_b32_e32 v0, 0xff, v0
	buffer_store_dword v0, off, s[48:51], 0 offset:152 ; 4-byte Folded Spill
	v_mul_u32_u24_e32 v0, 10, v0
	v_lshlrev_b32_e32 v0, 4, v0
	global_load_dwordx4 v[51:54], v0, s[14:15]
	global_load_dwordx4 v[47:50], v0, s[14:15] offset:16
	global_load_dwordx4 v[43:46], v0, s[14:15] offset:32
	;; [unrolled: 1-line block ×9, first 2 shown]
	s_mov_b32 s18, 0xf8bb580b
	s_mov_b32 s34, 0x8eee2c13
	s_mov_b32 s19, 0xbfe14ced
	s_mov_b32 s35, 0xbfed1bb4
	s_mov_b32 s6, 0x8764f0ba
	s_mov_b32 s16, 0xd9c712b6
	s_mov_b32 s28, 0xbb3a28a1
	s_mov_b32 s7, 0x3feaeb8c
	s_mov_b32 s17, 0x3fda9628
	s_mov_b32 s29, 0xbfe82f19
	s_mov_b32 s24, 0x43842ef
	s_mov_b32 s22, 0x7f775887
	s_mov_b32 s30, 0xfd768dbf
	s_mov_b32 s25, 0xbfefac9e
	s_mov_b32 s23, 0xbfe4f49e
	s_mov_b32 s31, 0x3fd207e7
	s_mov_b32 s20, 0x640f44db
	s_mov_b32 s26, 0x9bcd5057
	s_mov_b32 s21, 0xbfc2375f
	s_mov_b32 s27, 0xbfeeb42a
	s_mov_b32 s37, 0x3fefac9e
	s_mov_b32 s36, s24
	s_mov_b32 s39, 0xbfd207e7
	s_mov_b32 s41, 0x3fe14ced
	s_mov_b32 s38, s30
	s_mov_b32 s40, s18
	v_mul_u32_u24_e32 v6, 33, v6
	s_waitcnt vmcnt(9) lgkmcnt(9)
	v_mul_f64 v[0:1], v[82:83], v[53:54]
	v_mul_f64 v[2:3], v[80:81], v[53:54]
	s_waitcnt vmcnt(8) lgkmcnt(8)
	v_mul_f64 v[7:8], v[86:87], v[49:50]
	v_mul_f64 v[9:10], v[84:85], v[49:50]
	s_waitcnt vmcnt(5) lgkmcnt(5)
	v_mul_f64 v[21:22], v[98:99], v[61:62]
	s_waitcnt vmcnt(4) lgkmcnt(4)
	v_mul_f64 v[29:30], v[100:101], v[57:58]
	v_mul_f64 v[25:26], v[102:103], v[57:58]
	s_waitcnt vmcnt(2) lgkmcnt(3)
	v_mul_f64 v[140:141], v[106:107], v[33:34]
	s_waitcnt vmcnt(1) lgkmcnt(1)
	v_mul_f64 v[130:131], v[112:113], v[65:66]
	v_mul_f64 v[150:151], v[114:115], v[65:66]
	;; [unrolled: 1-line block ×3, first 2 shown]
	s_waitcnt lgkmcnt(0)
	v_mul_f64 v[27:28], v[116:117], v[74:75]
	v_mul_f64 v[120:121], v[118:119], v[74:75]
	v_fma_f64 v[126:127], v[80:81], v[51:52], -v[0:1]
	v_fma_f64 v[132:133], v[82:83], v[51:52], v[2:3]
	v_mul_f64 v[11:12], v[90:91], v[45:46]
	v_fma_f64 v[130:131], v[114:115], v[63:64], v[130:131]
	buffer_store_dword v63, off, s[48:51], 0 offset:212 ; 4-byte Folded Spill
	s_nop 0
	buffer_store_dword v64, off, s[48:51], 0 offset:216 ; 4-byte Folded Spill
	buffer_store_dword v65, off, s[48:51], 0 offset:220 ; 4-byte Folded Spill
	;; [unrolled: 1-line block ×3, first 2 shown]
	v_mul_f64 v[13:14], v[88:89], v[45:46]
	v_fma_f64 v[128:129], v[118:119], v[72:73], v[27:28]
	v_fma_f64 v[116:117], v[116:117], v[72:73], -v[120:121]
	v_mul_f64 v[23:24], v[96:97], v[61:62]
	s_waitcnt vmcnt(4)
	v_mul_f64 v[144:145], v[110:111], v[41:42]
	v_mul_f64 v[146:147], v[108:109], v[41:42]
	v_fma_f64 v[124:125], v[84:85], v[47:48], -v[7:8]
	v_fma_f64 v[134:135], v[86:87], v[47:48], v[9:10]
	v_fma_f64 v[118:119], v[96:97], v[59:60], -v[21:22]
	v_add_f64 v[96:97], v[132:133], -v[128:129]
	v_add_f64 v[227:228], v[126:127], -v[116:117]
	v_mul_f64 v[15:16], v[94:95], v[37:38]
	v_mul_f64 v[19:20], v[92:93], v[37:38]
	v_fma_f64 v[122:123], v[88:89], v[43:44], -v[11:12]
	v_fma_f64 v[136:137], v[90:91], v[43:44], v[13:14]
	v_fma_f64 v[148:149], v[98:99], v[59:60], v[23:24]
	v_fma_f64 v[114:115], v[100:101], v[55:56], -v[25:26]
	v_fma_f64 v[110:111], v[110:111], v[39:40], v[146:147]
	v_fma_f64 v[100:101], v[108:109], v[39:40], -v[144:145]
	v_add_f64 v[185:186], v[126:127], v[116:117]
	v_add_f64 v[249:250], v[134:135], -v[130:131]
	v_add_f64 v[98:99], v[132:133], v[128:129]
	v_mul_f64 v[156:157], v[227:228], s[18:19]
	v_mul_f64 v[168:169], v[96:97], s[34:35]
	;; [unrolled: 1-line block ×3, first 2 shown]
	v_fma_f64 v[120:121], v[92:93], v[35:36], -v[15:16]
	v_fma_f64 v[138:139], v[94:95], v[35:36], v[19:20]
	v_add_f64 v[0:1], v[134:135], v[130:131]
	v_add_f64 v[251:252], v[136:137], -v[110:111]
	v_add_f64 v[235:236], v[122:123], -v[100:101]
	v_mul_f64 v[108:109], v[249:250], s[34:35]
	v_mul_f64 v[170:171], v[249:250], s[28:29]
	v_fma_f64 v[9:10], v[98:99], s[6:7], -v[156:157]
	v_fma_f64 v[11:12], v[185:186], s[16:17], v[168:169]
	v_fma_f64 v[19:20], v[98:99], s[16:17], -v[176:177]
	v_add_f64 v[197:198], v[122:123], v[100:101]
	v_add_f64 v[2:3], v[136:137], v[110:111]
	v_mul_f64 v[152:153], v[251:252], s[24:25]
	v_mul_f64 v[162:163], v[235:236], s[24:25]
	;; [unrolled: 1-line block ×4, first 2 shown]
	v_add_f64 v[9:10], v[78:79], v[9:10]
	v_add_f64 v[11:12], v[76:77], v[11:12]
	;; [unrolled: 1-line block ×3, first 2 shown]
	v_add_f64 v[239:240], v[118:119], -v[114:115]
	v_fma_f64 v[21:22], v[197:198], s[20:21], v[152:153]
	v_fma_f64 v[25:26], v[2:3], s[20:21], -v[162:163]
	v_add_f64 v[211:212], v[118:119], v[114:115]
	v_mul_f64 v[166:167], v[239:240], s[38:39]
	v_mul_f64 v[231:232], v[239:240], s[40:41]
	v_fma_f64 v[112:113], v[112:113], v[63:64], -v[150:151]
	v_fma_f64 v[150:151], v[102:103], v[55:56], v[29:30]
	v_fma_f64 v[102:103], v[104:105], v[31:32], -v[140:141]
	buffer_store_dword v31, off, s[48:51], 0 offset:192 ; 4-byte Folded Spill
	s_nop 0
	buffer_store_dword v32, off, s[48:51], 0 offset:196 ; 4-byte Folded Spill
	buffer_store_dword v33, off, s[48:51], 0 offset:200 ; 4-byte Folded Spill
	;; [unrolled: 1-line block ×3, first 2 shown]
	v_fma_f64 v[29:30], v[2:3], s[26:27], -v[221:222]
	s_waitcnt vmcnt(0)
	s_barrier
	v_add_f64 v[233:234], v[124:125], -v[112:113]
	v_add_f64 v[191:192], v[124:125], v[112:113]
	v_add_f64 v[237:238], v[120:121], -v[102:103]
	v_add_f64 v[205:206], v[120:121], v[102:103]
	;; [unrolled: 2-line block ×3, first 2 shown]
	buffer_store_dword v6, off, s[48:51], 0 offset:156 ; 4-byte Folded Spill
	v_mul_f64 v[160:161], v[233:234], s[34:35]
	v_mul_f64 v[213:214], v[233:234], s[28:29]
	v_fma_f64 v[13:14], v[191:192], s[16:17], v[108:109]
	v_fma_f64 v[23:24], v[191:192], s[22:23], v[170:171]
	v_mul_f64 v[164:165], v[237:238], s[28:29]
	v_mul_f64 v[225:226], v[237:238], s[36:37]
	;; [unrolled: 1-line block ×4, first 2 shown]
	v_fma_f64 v[15:16], v[0:1], s[16:17], -v[160:161]
	v_fma_f64 v[27:28], v[0:1], s[22:23], -v[213:214]
	v_add_f64 v[11:12], v[23:24], v[11:12]
	v_add_f64 v[9:10], v[15:16], v[9:10]
	v_fma_f64 v[15:16], v[197:198], s[26:27], v[172:173]
	v_add_f64 v[19:20], v[27:28], v[19:20]
	v_add_f64 v[9:10], v[25:26], v[9:10]
	;; [unrolled: 1-line block ×4, first 2 shown]
	v_fma_f64 v[25:26], v[187:188], s[6:7], -v[231:232]
	v_fma_f64 v[104:105], v[106:107], v[31:32], v[142:143]
	v_mul_f64 v[106:107], v[96:97], s[18:19]
	v_add_f64 v[253:254], v[138:139], -v[104:105]
	v_fma_f64 v[7:8], v[185:186], s[6:7], v[106:107]
	v_add_f64 v[182:183], v[138:139], v[104:105]
	v_mul_f64 v[154:155], v[253:254], s[28:29]
	v_add_f64 v[7:8], v[76:77], v[7:8]
	v_mul_f64 v[174:175], v[253:254], s[36:37]
	v_fma_f64 v[23:24], v[182:183], s[22:23], -v[164:165]
	v_fma_f64 v[15:16], v[182:183], s[20:21], -v[225:226]
	v_add_f64 v[7:8], v[13:14], v[7:8]
	v_fma_f64 v[13:14], v[205:206], s[22:23], v[154:155]
	v_add_f64 v[9:10], v[23:24], v[9:10]
	v_fma_f64 v[23:24], v[187:188], s[26:27], -v[166:167]
	v_add_f64 v[15:16], v[15:16], v[19:20]
	v_add_f64 v[7:8], v[21:22], v[7:8]
	v_fma_f64 v[21:22], v[205:206], s[20:21], v[174:175]
	v_add_f64 v[146:147], v[23:24], v[9:10]
	v_add_f64 v[142:143], v[25:26], v[15:16]
	;; [unrolled: 1-line block ×3, first 2 shown]
	v_fma_f64 v[13:14], v[211:212], s[26:27], v[158:159]
	v_add_f64 v[11:12], v[21:22], v[11:12]
	v_fma_f64 v[21:22], v[211:212], s[6:7], v[178:179]
	v_add_f64 v[144:145], v[13:14], v[7:8]
	v_add_f64 v[140:141], v[21:22], v[11:12]
	s_and_saveexec_b64 s[4:5], s[0:1]
	s_cbranch_execz .LBB0_5
; %bb.4:
	v_mul_f64 v[23:24], v[98:99], s[26:27]
	v_mul_f64 v[19:20], v[0:1], s[6:7]
	;; [unrolled: 1-line block ×5, first 2 shown]
	s_mov_b32 s45, 0x3fe82f19
	s_mov_b32 s44, s28
	v_mul_f64 v[10:11], v[182:183], s[16:17]
	v_fma_f64 v[25:26], v[227:228], s[30:31], v[23:24]
	v_fma_f64 v[21:22], v[233:234], s[18:19], v[19:20]
	;; [unrolled: 1-line block ×3, first 2 shown]
	v_mul_f64 v[29:30], v[249:250], s[40:41]
	v_fma_f64 v[86:87], v[185:186], s[26:27], v[84:85]
	buffer_store_dword v6, off, s[48:51], 0 offset:184 ; 4-byte Folded Spill
	s_nop 0
	buffer_store_dword v7, off, s[48:51], 0 offset:188 ; 4-byte Folded Spill
	v_mul_f64 v[6:7], v[187:188], s[20:21]
	v_fma_f64 v[12:13], v[237:238], s[34:35], v[10:11]
	v_add_f64 v[25:26], v[78:79], v[25:26]
	s_mov_b32 s43, 0x3fed1bb4
	s_mov_b32 s42, s34
	v_fma_f64 v[80:81], v[191:192], s[6:7], v[29:30]
	v_add_f64 v[86:87], v[76:77], v[86:87]
	v_fma_f64 v[10:11], v[237:238], s[42:43], v[10:11]
	v_fma_f64 v[8:9], v[239:240], s[36:37], v[6:7]
	;; [unrolled: 1-line block ×3, first 2 shown]
	v_add_f64 v[21:22], v[21:22], v[25:26]
	v_mul_f64 v[25:26], v[251:252], s[28:29]
	v_mul_f64 v[92:93], v[96:97], s[28:29]
	;; [unrolled: 1-line block ×3, first 2 shown]
	v_add_f64 v[80:81], v[80:81], v[86:87]
	v_mul_f64 v[241:242], v[0:1], s[22:23]
	v_mul_f64 v[201:202], v[2:3], s[20:21]
	;; [unrolled: 1-line block ×3, first 2 shown]
	v_add_f64 v[16:17], v[16:17], v[21:22]
	v_fma_f64 v[27:28], v[197:198], s[22:23], v[25:26]
	v_fma_f64 v[94:95], v[185:186], s[22:23], v[92:93]
	v_mul_f64 v[189:190], v[98:99], s[6:7]
	v_mul_f64 v[219:220], v[98:99], s[16:17]
	;; [unrolled: 1-line block ×5, first 2 shown]
	v_add_f64 v[12:13], v[12:13], v[16:17]
	v_mul_f64 v[16:17], v[253:254], s[42:43]
	v_add_f64 v[27:28], v[27:28], v[80:81]
	v_add_f64 v[94:95], v[76:77], v[94:95]
	v_mul_f64 v[31:32], v[185:186], s[6:7]
	v_mul_f64 v[245:246], v[182:183], s[20:21]
	;; [unrolled: 1-line block ×4, first 2 shown]
	v_add_f64 v[82:83], v[8:9], v[12:13]
	v_mul_f64 v[8:9], v[180:181], s[24:25]
	v_fma_f64 v[21:22], v[205:206], s[16:17], v[16:17]
	v_mul_f64 v[247:248], v[187:188], s[6:7]
	v_mul_f64 v[207:208], v[182:183], s[22:23]
	;; [unrolled: 1-line block ×6, first 2 shown]
	v_fma_f64 v[12:13], v[211:212], s[20:21], v[8:9]
	v_add_f64 v[21:22], v[21:22], v[27:28]
	v_add_f64 v[80:81], v[12:13], v[21:22]
	v_fma_f64 v[12:13], v[235:236], s[28:29], v[14:15]
	v_fma_f64 v[14:15], v[233:234], s[40:41], v[19:20]
	;; [unrolled: 1-line block ×3, first 2 shown]
	v_mul_f64 v[23:24], v[98:99], s[22:23]
	v_add_f64 v[19:20], v[78:79], v[19:20]
	v_add_f64 v[14:15], v[14:15], v[19:20]
	v_mul_f64 v[19:20], v[0:1], s[20:21]
	v_mul_f64 v[0:1], v[0:1], s[26:27]
	v_add_f64 v[12:13], v[12:13], v[14:15]
	v_fma_f64 v[14:15], v[185:186], s[26:27], -v[84:85]
	v_fma_f64 v[21:22], v[233:234], s[24:25], v[19:20]
	v_add_f64 v[10:11], v[10:11], v[12:13]
	v_fma_f64 v[12:13], v[191:192], s[6:7], -v[29:30]
	v_add_f64 v[14:15], v[76:77], v[14:15]
	v_mul_f64 v[29:30], v[249:250], s[36:37]
	v_add_f64 v[86:87], v[6:7], v[10:11]
	v_fma_f64 v[10:11], v[197:198], s[22:23], -v[25:26]
	v_add_f64 v[12:13], v[12:13], v[14:15]
	v_fma_f64 v[25:26], v[227:228], s[44:45], v[23:24]
	v_fma_f64 v[6:7], v[211:212], s[20:21], -v[8:9]
	v_fma_f64 v[8:9], v[205:206], s[16:17], -v[16:17]
	v_mul_f64 v[14:15], v[2:3], s[6:7]
	v_fma_f64 v[88:89], v[191:192], s[20:21], v[29:30]
	v_mul_f64 v[2:3], v[2:3], s[16:17]
	v_add_f64 v[10:11], v[10:11], v[12:13]
	v_add_f64 v[25:26], v[78:79], v[25:26]
	v_fma_f64 v[16:17], v[235:236], s[40:41], v[14:15]
	v_add_f64 v[88:89], v[88:89], v[94:95]
	v_add_f64 v[8:9], v[8:9], v[10:11]
	v_mul_f64 v[10:11], v[182:183], s[26:27]
	v_add_f64 v[21:22], v[21:22], v[25:26]
	v_mul_f64 v[25:26], v[251:252], s[18:19]
	;; [unrolled: 2-line block ×3, first 2 shown]
	v_fma_f64 v[12:13], v[237:238], s[30:31], v[10:11]
	v_add_f64 v[16:17], v[16:17], v[21:22]
	v_fma_f64 v[27:28], v[197:198], s[6:7], v[25:26]
	v_fma_f64 v[10:11], v[237:238], s[38:39], v[10:11]
	v_fma_f64 v[8:9], v[239:240], s[34:35], v[6:7]
	v_fma_f64 v[6:7], v[239:240], s[42:43], v[6:7]
	v_add_f64 v[12:13], v[12:13], v[16:17]
	v_mul_f64 v[16:17], v[253:254], s[38:39]
	v_add_f64 v[27:28], v[27:28], v[88:89]
	v_add_f64 v[90:91], v[8:9], v[12:13]
	v_mul_f64 v[8:9], v[180:181], s[42:43]
	v_fma_f64 v[21:22], v[205:206], s[26:27], v[16:17]
	v_fma_f64 v[12:13], v[211:212], s[16:17], v[8:9]
	v_add_f64 v[21:22], v[21:22], v[27:28]
	v_add_f64 v[88:89], v[12:13], v[21:22]
	v_fma_f64 v[12:13], v[235:236], s[18:19], v[14:15]
	v_fma_f64 v[14:15], v[233:234], s[36:37], v[19:20]
	;; [unrolled: 1-line block ×3, first 2 shown]
	v_add_f64 v[19:20], v[78:79], v[19:20]
	v_add_f64 v[14:15], v[14:15], v[19:20]
	v_mul_f64 v[19:20], v[98:99], s[20:21]
	v_add_f64 v[12:13], v[12:13], v[14:15]
	v_fma_f64 v[14:15], v[185:186], s[22:23], -v[92:93]
	v_fma_f64 v[21:22], v[227:228], s[36:37], v[19:20]
	v_add_f64 v[10:11], v[10:11], v[12:13]
	v_fma_f64 v[12:13], v[191:192], s[20:21], -v[29:30]
	v_add_f64 v[14:15], v[76:77], v[14:15]
	v_add_f64 v[21:22], v[78:79], v[21:22]
	v_mul_f64 v[29:30], v[96:97], s[24:25]
	v_add_f64 v[94:95], v[6:7], v[10:11]
	v_fma_f64 v[10:11], v[197:198], s[6:7], -v[25:26]
	v_add_f64 v[12:13], v[12:13], v[14:15]
	v_fma_f64 v[6:7], v[211:212], s[16:17], -v[8:9]
	v_fma_f64 v[8:9], v[205:206], s[26:27], -v[16:17]
	v_fma_f64 v[16:17], v[233:234], s[38:39], v[0:1]
	v_fma_f64 v[14:15], v[235:236], s[34:35], v[2:3]
	v_mul_f64 v[25:26], v[249:250], s[30:31]
	v_fma_f64 v[96:97], v[185:186], s[20:21], v[29:30]
	v_fma_f64 v[0:1], v[233:234], s[30:31], v[0:1]
	v_add_f64 v[10:11], v[10:11], v[12:13]
	v_fma_f64 v[2:3], v[235:236], s[42:43], v[2:3]
	v_add_f64 v[16:17], v[16:17], v[21:22]
	v_mul_f64 v[21:22], v[251:252], s[42:43]
	v_fma_f64 v[27:28], v[191:192], s[26:27], v[25:26]
	v_add_f64 v[96:97], v[76:77], v[96:97]
	v_add_f64 v[8:9], v[8:9], v[10:11]
	v_mul_f64 v[10:11], v[182:183], s[6:7]
	v_add_f64 v[14:15], v[14:15], v[16:17]
	v_fma_f64 v[23:24], v[197:198], s[16:17], v[21:22]
	v_add_f64 v[27:28], v[27:28], v[96:97]
	v_add_f64 v[92:93], v[6:7], v[8:9]
	v_mul_f64 v[6:7], v[187:188], s[22:23]
	v_fma_f64 v[12:13], v[237:238], s[40:41], v[10:11]
	v_fma_f64 v[10:11], v[237:238], s[18:19], v[10:11]
	v_add_f64 v[23:24], v[23:24], v[27:28]
	v_fma_f64 v[8:9], v[239:240], s[44:45], v[6:7]
	v_add_f64 v[12:13], v[12:13], v[14:15]
	v_mul_f64 v[14:15], v[253:254], s[18:19]
	v_fma_f64 v[6:7], v[239:240], s[28:29], v[6:7]
	v_add_f64 v[98:99], v[8:9], v[12:13]
	v_mul_f64 v[8:9], v[180:181], s[28:29]
	v_fma_f64 v[16:17], v[205:206], s[6:7], v[14:15]
	v_fma_f64 v[12:13], v[211:212], s[22:23], v[8:9]
	v_add_f64 v[16:17], v[16:17], v[23:24]
	v_add_f64 v[96:97], v[12:13], v[16:17]
	v_fma_f64 v[12:13], v[227:228], s[24:25], v[19:20]
	v_add_f64 v[16:17], v[203:204], -v[168:169]
	v_add_f64 v[19:20], v[156:157], v[189:190]
	v_add_f64 v[12:13], v[78:79], v[12:13]
	;; [unrolled: 1-line block ×5, first 2 shown]
	v_fma_f64 v[12:13], v[185:186], s[20:21], -v[29:30]
	v_add_f64 v[0:1], v[2:3], v[0:1]
	v_add_f64 v[12:13], v[76:77], v[12:13]
	;; [unrolled: 1-line block ×3, first 2 shown]
	v_fma_f64 v[10:11], v[191:192], s[26:27], -v[25:26]
	v_add_f64 v[2:3], v[6:7], v[0:1]
	v_fma_f64 v[6:7], v[205:206], s[6:7], -v[14:15]
	v_add_f64 v[14:15], v[176:177], v[219:220]
	v_fma_f64 v[0:1], v[211:212], s[22:23], -v[8:9]
	v_fma_f64 v[8:9], v[197:198], s[16:17], -v[21:22]
	v_add_f64 v[10:11], v[10:11], v[12:13]
	v_add_f64 v[12:13], v[213:214], v[241:242]
	v_add_f64 v[21:22], v[31:32], -v[106:107]
	v_add_f64 v[14:15], v[78:79], v[14:15]
	v_add_f64 v[8:9], v[8:9], v[10:11]
	;; [unrolled: 1-line block ×5, first 2 shown]
	v_add_f64 v[14:15], v[209:210], -v[170:171]
	v_add_f64 v[6:7], v[6:7], v[8:9]
	v_add_f64 v[8:9], v[225:226], v[245:246]
	;; [unrolled: 1-line block ×3, first 2 shown]
	v_add_f64 v[12:13], v[217:218], -v[172:173]
	v_add_f64 v[14:15], v[14:15], v[16:17]
	v_add_f64 v[16:17], v[160:161], v[195:196]
	;; [unrolled: 1-line block ×5, first 2 shown]
	v_add_f64 v[10:11], v[223:224], -v[174:175]
	v_add_f64 v[12:13], v[12:13], v[14:15]
	v_add_f64 v[14:15], v[162:163], v[201:202]
	;; [unrolled: 1-line block ×3, first 2 shown]
	v_add_f64 v[19:20], v[33:34], -v[108:109]
	v_add_f64 v[8:9], v[6:7], v[8:9]
	v_add_f64 v[6:7], v[229:230], -v[178:179]
	v_add_f64 v[10:11], v[10:11], v[12:13]
	v_add_f64 v[12:13], v[164:165], v[207:208]
	;; [unrolled: 1-line block ×3, first 2 shown]
	buffer_load_dword v16, off, s[48:51], 0 offset:184 ; 4-byte Folded Reload
	buffer_load_dword v17, off, s[48:51], 0 offset:188 ; 4-byte Folded Reload
	v_add_f64 v[19:20], v[19:20], v[21:22]
	v_add_f64 v[6:7], v[6:7], v[10:11]
	;; [unrolled: 1-line block ×4, first 2 shown]
	v_add_f64 v[14:15], v[193:194], -v[154:155]
	v_add_f64 v[12:13], v[10:11], v[12:13]
	v_add_f64 v[10:11], v[199:200], -v[158:159]
	s_waitcnt vmcnt(0)
	v_add_f64 v[16:17], v[16:17], -v[152:153]
	v_add_f64 v[16:17], v[16:17], v[19:20]
	buffer_load_dword v19, off, s[48:51], 0 offset:152 ; 4-byte Folded Reload
	buffer_load_dword v20, off, s[48:51], 0 offset:156 ; 4-byte Folded Reload
	v_add_f64 v[14:15], v[14:15], v[16:17]
	v_add_f64 v[10:11], v[10:11], v[14:15]
	;; [unrolled: 1-line block ×11, first 2 shown]
	s_waitcnt vmcnt(0)
	v_add_lshl_u32 v19, v20, v19, 4
	v_add_f64 v[16:17], v[14:15], v[128:129]
	v_add_f64 v[14:15], v[76:77], v[126:127]
	;; [unrolled: 1-line block ×11, first 2 shown]
	ds_write_b128 v19, v[14:17]
	ds_write_b128 v19, v[10:13] offset:48
	ds_write_b128 v19, v[6:9] offset:96
	;; [unrolled: 1-line block ×10, first 2 shown]
.LBB0_5:
	s_or_b64 exec, exec, s[4:5]
	s_movk_i32 s4, 0xf9
	v_mul_lo_u16_sdwa v0, v255, s4 dst_sel:DWORD dst_unused:UNUSED_PAD src0_sel:BYTE_0 src1_sel:DWORD
	v_lshrrev_b16_e32 v16, 13, v0
	v_mul_lo_u16_e32 v0, 33, v16
	v_sub_u16_e32 v0, v255, v0
	v_and_b32_e32 v17, 0xff, v0
	v_lshlrev_b32_e32 v0, 5, v17
	s_waitcnt vmcnt(0) lgkmcnt(0)
	s_barrier
	global_load_dwordx4 v[76:79], v0, s[14:15] offset:496
	global_load_dwordx4 v[80:83], v0, s[14:15] offset:480
	v_mul_lo_u16_sdwa v0, v5, s4 dst_sel:DWORD dst_unused:UNUSED_PAD src0_sel:BYTE_0 src1_sel:DWORD
	v_lshrrev_b16_e32 v19, 13, v0
	v_mul_lo_u16_e32 v0, 33, v19
	v_sub_u16_e32 v0, v5, v0
	v_and_b32_e32 v20, 0xff, v0
	v_lshlrev_b32_e32 v0, 5, v20
	s_mov_b32 s4, 0xf83f
	global_load_dwordx4 v[84:87], v0, s[14:15] offset:496
	global_load_dwordx4 v[96:99], v0, s[14:15] offset:480
	v_mul_u32_u24_sdwa v0, v4, s4 dst_sel:DWORD dst_unused:UNUSED_PAD src0_sel:WORD_0 src1_sel:DWORD
	v_lshrrev_b32_e32 v21, 21, v0
	v_mul_lo_u16_e32 v0, 33, v21
	v_sub_u16_e32 v22, v4, v0
	v_lshlrev_b16_e32 v0, 5, v22
	v_mov_b32_e32 v1, s15
	v_add_co_u32_e32 v0, vcc, s14, v0
	v_addc_co_u32_e32 v1, vcc, 0, v1, vcc
	global_load_dwordx4 v[104:107], v[0:1], off offset:480
	global_load_dwordx4 v[92:95], v[0:1], off offset:496
	ds_read_b128 v[0:3], v18
	ds_read_b128 v[4:7], v18 offset:1936
	ds_read_b128 v[8:11], v18 offset:11616
	;; [unrolled: 1-line block ×8, first 2 shown]
	s_movk_i32 s16, 0x63
	v_mul_u32_u24_e32 v16, 0x63, v16
	v_mul_u32_u24_e32 v19, 0x63, v19
	v_mad_legacy_u16 v21, v21, s16, v22
	v_add_lshl_u32 v32, v16, v17, 4
	v_add_lshl_u32 v184, v19, v20, 4
	v_lshlrev_b32_e32 v31, 4, v21
	s_mov_b32 s4, 0xe8584caa
	s_mov_b32 s5, 0x3febb67a
	;; [unrolled: 1-line block ×4, first 2 shown]
	s_waitcnt vmcnt(0) lgkmcnt(0)
	s_barrier
	v_mul_f64 v[21:22], v[10:11], v[78:79]
	v_mul_f64 v[16:17], v[90:91], v[82:83]
	;; [unrolled: 1-line block ×8, first 2 shown]
	v_fma_f64 v[16:17], v[88:89], v[80:81], -v[16:17]
	v_fma_f64 v[19:20], v[90:91], v[80:81], v[19:20]
	v_fma_f64 v[8:9], v[8:9], v[76:77], -v[21:22]
	v_fma_f64 v[10:11], v[10:11], v[76:77], v[23:24]
	v_fma_f64 v[12:13], v[12:13], v[84:85], -v[29:30]
	v_fma_f64 v[21:22], v[108:109], v[96:97], -v[25:26]
	v_fma_f64 v[23:24], v[110:111], v[96:97], v[27:28]
	v_mul_f64 v[122:123], v[114:115], v[106:107]
	v_mul_f64 v[124:125], v[112:113], v[106:107]
	;; [unrolled: 1-line block ×4, first 2 shown]
	v_fma_f64 v[14:15], v[14:15], v[84:85], v[120:121]
	v_add_f64 v[90:91], v[0:1], v[16:17]
	v_add_f64 v[108:109], v[16:17], v[8:9]
	v_add_f64 v[110:111], v[19:20], -v[10:11]
	v_fma_f64 v[25:26], v[112:113], v[104:105], -v[122:123]
	v_fma_f64 v[27:28], v[114:115], v[104:105], v[124:125]
	v_fma_f64 v[29:30], v[116:117], v[92:93], -v[126:127]
	v_fma_f64 v[88:89], v[118:119], v[92:93], v[128:129]
	v_add_f64 v[112:113], v[2:3], v[19:20]
	v_add_f64 v[19:20], v[19:20], v[10:11]
	;; [unrolled: 1-line block ×3, first 2 shown]
	v_add_f64 v[134:135], v[23:24], -v[14:15]
	v_add_f64 v[118:119], v[6:7], v[23:24]
	v_add_f64 v[23:24], v[23:24], v[14:15]
	;; [unrolled: 1-line block ×3, first 2 shown]
	v_add_f64 v[154:155], v[27:28], -v[88:89]
	v_add_f64 v[130:131], v[102:103], v[27:28]
	v_add_f64 v[27:28], v[27:28], v[88:89]
	v_add_f64 v[16:17], v[16:17], -v[8:9]
	v_add_f64 v[114:115], v[4:5], v[21:22]
	v_add_f64 v[21:22], v[21:22], -v[12:13]
	;; [unrolled: 2-line block ×3, first 2 shown]
	v_add_f64 v[148:149], v[90:91], v[8:9]
	v_fma_f64 v[0:1], v[108:109], -0.5, v[0:1]
	v_add_f64 v[150:151], v[112:113], v[10:11]
	v_fma_f64 v[2:3], v[19:20], -0.5, v[2:3]
	v_fma_f64 v[4:5], v[116:117], -0.5, v[4:5]
	;; [unrolled: 1-line block ×5, first 2 shown]
	v_add_f64 v[120:121], v[114:115], v[12:13]
	v_add_f64 v[122:123], v[118:119], v[14:15]
	;; [unrolled: 1-line block ×4, first 2 shown]
	v_fma_f64 v[116:117], v[110:111], s[4:5], v[0:1]
	v_fma_f64 v[124:125], v[110:111], s[6:7], v[0:1]
	v_fma_f64 v[118:119], v[16:17], s[6:7], v[2:3]
	v_fma_f64 v[126:127], v[16:17], s[4:5], v[2:3]
	v_fma_f64 v[132:133], v[134:135], s[4:5], v[4:5]
	v_fma_f64 v[136:137], v[134:135], s[6:7], v[4:5]
	v_fma_f64 v[134:135], v[21:22], s[6:7], v[6:7]
	v_fma_f64 v[138:139], v[21:22], s[4:5], v[6:7]
	v_fma_f64 v[152:153], v[154:155], s[4:5], v[8:9]
	v_fma_f64 v[156:157], v[154:155], s[6:7], v[8:9]
	v_fma_f64 v[154:155], v[25:26], s[6:7], v[10:11]
	v_fma_f64 v[158:159], v[25:26], s[4:5], v[10:11]
	ds_write_b128 v32, v[148:151]
	ds_write_b128 v32, v[116:119] offset:528
	buffer_store_dword v32, off, s[48:51], 0 offset:208 ; 4-byte Folded Spill
	ds_write_b128 v32, v[124:127] offset:1056
	ds_write_b128 v184, v[120:123]
	ds_write_b128 v184, v[132:135] offset:528
	ds_write_b128 v184, v[136:139] offset:1056
	ds_write_b128 v31, v[128:131]
	ds_write_b128 v31, v[152:155] offset:528
	buffer_store_dword v31, off, s[48:51], 0 offset:184 ; 4-byte Folded Spill
	ds_write_b128 v31, v[156:159] offset:1056
	s_waitcnt vmcnt(0) lgkmcnt(0)
	s_barrier
	s_and_saveexec_b64 s[4:5], s[0:1]
	s_cbranch_execz .LBB0_7
; %bb.6:
	ds_read_b128 v[148:151], v18
	ds_read_b128 v[116:119], v18 offset:1584
	ds_read_b128 v[124:127], v18 offset:3168
	ds_read_b128 v[120:123], v18 offset:4752
	ds_read_b128 v[132:135], v18 offset:6336
	ds_read_b128 v[136:139], v18 offset:7920
	ds_read_b128 v[128:131], v18 offset:9504
	ds_read_b128 v[152:155], v18 offset:11088
	ds_read_b128 v[156:159], v18 offset:12672
	ds_read_b128 v[140:143], v18 offset:14256
	ds_read_b128 v[144:147], v18 offset:15840
.LBB0_7:
	s_or_b64 exec, exec, s[4:5]
	v_add_u32_e32 v0, 0xffffff9d, v255
	v_cndmask_b32_e64 v0, v0, v255, s[0:1]
	v_mul_hi_i32_i24_e32 v1, 0xa0, v0
	v_mul_i32_i24_e32 v0, 0xa0, v0
	v_add_co_u32_e32 v0, vcc, s14, v0
	v_mov_b32_e32 v2, s15
	v_addc_co_u32_e32 v1, vcc, v2, v1, vcc
	global_load_dwordx4 v[112:115], v[0:1], off offset:1584
	global_load_dwordx4 v[108:111], v[0:1], off offset:1568
	;; [unrolled: 1-line block ×4, first 2 shown]
	s_mov_b32 s6, 0xf8bb580b
	s_mov_b32 s7, 0xbfe14ced
	;; [unrolled: 1-line block ×26, first 2 shown]
	s_waitcnt vmcnt(0) lgkmcnt(9)
	v_mul_f64 v[2:3], v[118:119], v[102:103]
	v_fma_f64 v[229:230], v[116:117], v[100:101], -v[2:3]
	v_mul_f64 v[2:3], v[116:117], v[102:103]
	v_fma_f64 v[164:165], v[118:119], v[100:101], v[2:3]
	s_waitcnt lgkmcnt(8)
	v_mul_f64 v[2:3], v[126:127], v[90:91]
	v_fma_f64 v[33:34], v[124:125], v[88:89], -v[2:3]
	v_mul_f64 v[2:3], v[124:125], v[90:91]
	v_fma_f64 v[160:161], v[126:127], v[88:89], v[2:3]
	s_waitcnt lgkmcnt(7)
	;; [unrolled: 5-line block ×3, first 2 shown]
	v_mul_f64 v[2:3], v[134:135], v[114:115]
	v_fma_f64 v[25:26], v[132:133], v[112:113], -v[2:3]
	v_mul_f64 v[2:3], v[132:133], v[114:115]
	v_fma_f64 v[27:28], v[134:135], v[112:113], v[2:3]
	global_load_dwordx4 v[116:119], v[0:1], off offset:1648
	global_load_dwordx4 v[120:123], v[0:1], off offset:1632
	;; [unrolled: 1-line block ×4, first 2 shown]
	s_waitcnt vmcnt(0) lgkmcnt(5)
	v_mul_f64 v[2:3], v[138:139], v[134:135]
	v_fma_f64 v[176:177], v[136:137], v[132:133], -v[2:3]
	v_mul_f64 v[2:3], v[136:137], v[134:135]
	v_fma_f64 v[180:181], v[138:139], v[132:133], v[2:3]
	s_waitcnt lgkmcnt(4)
	v_mul_f64 v[2:3], v[130:131], v[126:127]
	v_fma_f64 v[172:173], v[128:129], v[124:125], -v[2:3]
	v_mul_f64 v[2:3], v[128:129], v[126:127]
	v_add_f64 v[253:254], v[176:177], v[172:173]
	v_fma_f64 v[231:232], v[130:131], v[124:125], v[2:3]
	global_load_dwordx4 v[128:131], v[0:1], off offset:1680
	global_load_dwordx4 v[136:139], v[0:1], off offset:1664
	s_waitcnt lgkmcnt(3)
	v_mul_f64 v[2:3], v[154:155], v[122:123]
	v_fma_f64 v[233:234], v[152:153], v[120:121], -v[2:3]
	v_mul_f64 v[2:3], v[152:153], v[122:123]
	v_add_f64 v[237:238], v[25:26], v[233:234]
	v_fma_f64 v[239:240], v[154:155], v[120:121], v[2:3]
	s_waitcnt lgkmcnt(2)
	v_mul_f64 v[2:3], v[158:159], v[118:119]
	v_add_f64 v[243:244], v[25:26], -v[233:234]
	v_fma_f64 v[166:167], v[156:157], v[116:117], -v[2:3]
	v_mul_f64 v[2:3], v[156:157], v[118:119]
	v_mul_f64 v[219:220], v[243:244], s[18:19]
	;; [unrolled: 1-line block ×3, first 2 shown]
	v_add_f64 v[217:218], v[29:30], v[166:167]
	v_fma_f64 v[156:157], v[158:159], v[116:117], v[2:3]
	v_add_f64 v[223:224], v[29:30], -v[166:167]
	v_add_f64 v[247:248], v[31:32], -v[156:157]
	v_add_f64 v[249:250], v[31:32], v[156:157]
	v_mul_f64 v[203:204], v[223:224], s[26:27]
	v_mul_f64 v[65:66], v[223:224], s[28:29]
	;; [unrolled: 1-line block ×4, first 2 shown]
	s_waitcnt vmcnt(0) lgkmcnt(1)
	v_mul_f64 v[0:1], v[142:143], v[138:139]
	v_fma_f64 v[158:159], v[140:141], v[136:137], -v[0:1]
	v_mul_f64 v[0:1], v[140:141], v[138:139]
	v_add_f64 v[205:206], v[33:34], v[158:159]
	v_fma_f64 v[191:192], v[142:143], v[136:137], v[0:1]
	s_waitcnt lgkmcnt(0)
	v_mul_f64 v[0:1], v[146:147], v[130:131]
	v_add_f64 v[227:228], v[33:34], -v[158:159]
	v_add_f64 v[235:236], v[160:161], -v[191:192]
	v_fma_f64 v[195:196], v[144:145], v[128:129], -v[0:1]
	v_mul_f64 v[0:1], v[144:145], v[130:131]
	v_add_f64 v[241:242], v[160:161], v[191:192]
	v_mul_f64 v[187:188], v[227:228], s[20:21]
	v_mul_f64 v[199:200], v[227:228], s[18:19]
	;; [unrolled: 1-line block ×3, first 2 shown]
	v_add_f64 v[193:194], v[229:230], v[195:196]
	v_fma_f64 v[251:252], v[146:147], v[128:129], v[0:1]
	v_add_f64 v[207:208], v[229:230], -v[195:196]
	v_mul_f64 v[189:190], v[235:236], s[18:19]
	v_fma_f64 v[8:9], v[205:206], s[14:15], v[185:186]
	v_add_f64 v[209:210], v[164:165], -v[251:252]
	v_add_f64 v[213:214], v[164:165], v[251:252]
	v_mul_f64 v[140:141], v[207:208], s[6:7]
	v_mul_f64 v[245:246], v[207:208], s[20:21]
	;; [unrolled: 1-line block ×4, first 2 shown]
	v_fma_f64 v[2:3], v[213:214], s[4:5], -v[140:141]
	v_fma_f64 v[6:7], v[213:214], s[14:15], -v[245:246]
	v_fma_f64 v[0:1], v[193:194], s[4:5], v[178:179]
	v_fma_f64 v[4:5], v[193:194], s[14:15], v[182:183]
	v_add_f64 v[2:3], v[150:151], v[2:3]
	v_add_f64 v[6:7], v[150:151], v[6:7]
	;; [unrolled: 1-line block ×5, first 2 shown]
	v_fma_f64 v[8:9], v[241:242], s[14:15], -v[187:188]
	v_add_f64 v[2:3], v[8:9], v[2:3]
	v_fma_f64 v[8:9], v[205:206], s[16:17], v[189:190]
	v_add_f64 v[4:5], v[8:9], v[4:5]
	v_fma_f64 v[8:9], v[241:242], s[16:17], -v[199:200]
	v_add_f64 v[6:7], v[8:9], v[6:7]
	v_fma_f64 v[8:9], v[217:218], s[22:23], v[201:202]
	v_add_f64 v[8:9], v[8:9], v[0:1]
	;; [unrolled: 4-line block ×3, first 2 shown]
	v_add_f64 v[4:5], v[0:1], v[4:5]
	v_fma_f64 v[0:1], v[249:250], s[24:25], -v[65:66]
	v_add_f64 v[6:7], v[0:1], v[6:7]
	v_add_f64 v[0:1], v[27:28], -v[239:240]
	v_mul_f64 v[211:212], v[0:1], s[18:19]
	v_mul_f64 v[63:64], v[0:1], s[30:31]
	v_fma_f64 v[12:13], v[237:238], s[16:17], v[211:212]
	v_add_f64 v[14:15], v[12:13], v[8:9]
	v_fma_f64 v[8:9], v[2:3], s[16:17], -v[219:220]
	v_add_f64 v[12:13], v[180:181], -v[231:232]
	v_add_f64 v[16:17], v[8:9], v[10:11]
	v_fma_f64 v[8:9], v[237:238], s[22:23], v[63:64]
	v_add_f64 v[19:20], v[8:9], v[4:5]
	v_fma_f64 v[4:5], v[2:3], s[22:23], -v[69:70]
	v_mul_f64 v[8:9], v[12:13], s[36:37]
	v_add_f64 v[21:22], v[4:5], v[6:7]
	v_add_f64 v[6:7], v[176:177], -v[172:173]
	v_add_f64 v[4:5], v[180:181], v[231:232]
	v_fma_f64 v[23:24], v[253:254], s[24:25], v[8:9]
	v_mul_f64 v[10:11], v[6:7], s[36:37]
	v_add_f64 v[152:153], v[23:24], v[14:15]
	v_fma_f64 v[14:15], v[4:5], s[24:25], -v[10:11]
	v_add_f64 v[154:155], v[14:15], v[16:17]
	v_mul_f64 v[14:15], v[12:13], s[38:39]
	v_mul_f64 v[16:17], v[6:7], s[38:39]
	v_fma_f64 v[23:24], v[253:254], s[4:5], v[14:15]
	v_add_f64 v[144:145], v[23:24], v[19:20]
	v_fma_f64 v[19:20], v[4:5], s[4:5], -v[16:17]
	v_add_f64 v[146:147], v[19:20], v[21:22]
	s_and_saveexec_b64 s[34:35], s[0:1]
	s_cbranch_execz .LBB0_9
; %bb.8:
	v_mul_f64 v[19:20], v[193:194], s[4:5]
	v_mul_f64 v[21:22], v[217:218], s[24:25]
	;; [unrolled: 1-line block ×4, first 2 shown]
	s_mov_b32 s43, 0x3fe82f19
	s_mov_b32 s42, s18
	;; [unrolled: 1-line block ×4, first 2 shown]
	buffer_store_dword v19, off, s[48:51], 0 offset:260 ; 4-byte Folded Spill
	s_nop 0
	buffer_store_dword v20, off, s[48:51], 0 offset:264 ; 4-byte Folded Spill
	v_mul_f64 v[19:20], v[213:214], s[4:5]
	v_mul_f64 v[221:222], v[247:248], s[6:7]
	v_fma_f64 v[197:198], v[227:228], s[6:7], v[23:24]
	v_fma_f64 v[23:24], v[227:228], s[38:39], v[23:24]
	v_mov_b32_e32 v142, v172
	v_mov_b32_e32 v143, v173
	buffer_store_dword v19, off, s[48:51], 0 offset:292 ; 4-byte Folded Spill
	s_nop 0
	buffer_store_dword v20, off, s[48:51], 0 offset:296 ; 4-byte Folded Spill
	v_mul_f64 v[19:20], v[193:194], s[14:15]
	v_fma_f64 v[174:175], v[217:218], s[4:5], v[221:222]
	buffer_store_dword v19, off, s[48:51], 0 offset:268 ; 4-byte Folded Spill
	s_nop 0
	buffer_store_dword v20, off, s[48:51], 0 offset:272 ; 4-byte Folded Spill
	buffer_store_dword v195, off, s[48:51], 0 offset:228 ; 4-byte Folded Spill
	s_nop 0
	buffer_store_dword v196, off, s[48:51], 0 offset:232 ; 4-byte Folded Spill
	v_mul_f64 v[19:20], v[205:206], s[14:15]
	v_mul_f64 v[195:196], v[213:214], s[14:15]
	buffer_store_dword v19, off, s[48:51], 0 offset:252 ; 4-byte Folded Spill
	s_nop 0
	buffer_store_dword v20, off, s[48:51], 0 offset:256 ; 4-byte Folded Spill
	v_mul_f64 v[19:20], v[241:242], s[14:15]
	v_add_f64 v[195:196], v[245:246], v[195:196]
	buffer_store_dword v19, off, s[48:51], 0 offset:276 ; 4-byte Folded Spill
	s_nop 0
	buffer_store_dword v20, off, s[48:51], 0 offset:280 ; 4-byte Folded Spill
	v_mul_f64 v[19:20], v[205:206], s[16:17]
	buffer_store_dword v19, off, s[48:51], 0 offset:284 ; 4-byte Folded Spill
	s_nop 0
	buffer_store_dword v20, off, s[48:51], 0 offset:288 ; 4-byte Folded Spill
	v_mul_f64 v[19:20], v[241:242], s[16:17]
	;; [unrolled: 4-line block ×4, first 2 shown]
	buffer_store_dword v19, off, s[48:51], 0 offset:244 ; 4-byte Folded Spill
	s_nop 0
	buffer_store_dword v20, off, s[48:51], 0 offset:248 ; 4-byte Folded Spill
	buffer_store_dword v21, off, s[48:51], 0 offset:324 ; 4-byte Folded Spill
	s_nop 0
	buffer_store_dword v22, off, s[48:51], 0 offset:328 ; 4-byte Folded Spill
	v_mul_f64 v[21:22], v[249:250], s[24:25]
	v_mul_f64 v[19:20], v[213:214], s[24:25]
	buffer_store_dword v21, off, s[48:51], 0 offset:372 ; 4-byte Folded Spill
	s_nop 0
	buffer_store_dword v22, off, s[48:51], 0 offset:376 ; 4-byte Folded Spill
	v_mul_f64 v[21:22], v[237:238], s[16:17]
	buffer_store_dword v21, off, s[48:51], 0 offset:300 ; 4-byte Folded Spill
	s_nop 0
	buffer_store_dword v22, off, s[48:51], 0 offset:304 ; 4-byte Folded Spill
	v_mul_f64 v[21:22], v[2:3], s[16:17]
	buffer_store_dword v21, off, s[48:51], 0 offset:308 ; 4-byte Folded Spill
	s_nop 0
	buffer_store_dword v22, off, s[48:51], 0 offset:312 ; 4-byte Folded Spill
	v_mul_f64 v[21:22], v[237:238], s[22:23]
	buffer_store_dword v21, off, s[48:51], 0 offset:316 ; 4-byte Folded Spill
	s_nop 0
	buffer_store_dword v22, off, s[48:51], 0 offset:320 ; 4-byte Folded Spill
	buffer_store_dword v25, off, s[48:51], 0 offset:404 ; 4-byte Folded Spill
	s_nop 0
	buffer_store_dword v26, off, s[48:51], 0 offset:408 ; 4-byte Folded Spill
	buffer_store_dword v67, off, s[48:51], 0 offset:420 ; 4-byte Folded Spill
	s_nop 0
	buffer_store_dword v68, off, s[48:51], 0 offset:424 ; 4-byte Folded Spill
	v_mul_f64 v[67:68], v[253:254], s[24:25]
	v_mul_f64 v[21:22], v[209:210], s[36:37]
	v_fma_f64 v[25:26], v[207:208], s[28:29], v[19:20]
	v_fma_f64 v[19:20], v[207:208], s[36:37], v[19:20]
	buffer_store_dword v67, off, s[48:51], 0 offset:332 ; 4-byte Folded Spill
	s_nop 0
	buffer_store_dword v68, off, s[48:51], 0 offset:336 ; 4-byte Folded Spill
	v_mul_f64 v[67:68], v[4:5], s[24:25]
	v_add_f64 v[25:26], v[150:151], v[25:26]
	v_add_f64 v[19:20], v[150:151], v[19:20]
	buffer_store_dword v67, off, s[48:51], 0 offset:340 ; 4-byte Folded Spill
	s_nop 0
	buffer_store_dword v68, off, s[48:51], 0 offset:344 ; 4-byte Folded Spill
	buffer_store_dword v29, off, s[48:51], 0 offset:436 ; 4-byte Folded Spill
	s_nop 0
	buffer_store_dword v30, off, s[48:51], 0 offset:440 ; 4-byte Folded Spill
	;; [unrolled: 3-line block ×4, first 2 shown]
	v_mul_f64 v[211:212], v[235:236], s[38:39]
	v_fma_f64 v[201:202], v[193:194], s[24:25], v[21:22]
	buffer_store_dword v176, off, s[48:51], 0 offset:412 ; 4-byte Folded Spill
	s_nop 0
	buffer_store_dword v177, off, s[48:51], 0 offset:416 ; 4-byte Folded Spill
	buffer_store_dword v33, off, s[48:51], 0 offset:452 ; 4-byte Folded Spill
	s_nop 0
	buffer_store_dword v34, off, s[48:51], 0 offset:456 ; 4-byte Folded Spill
	;; [unrolled: 3-line block ×3, first 2 shown]
	v_mov_b32_e32 v188, v32
	buffer_store_dword v27, off, s[48:51], 0 offset:444 ; 4-byte Folded Spill
	s_nop 0
	buffer_store_dword v28, off, s[48:51], 0 offset:448 ; 4-byte Folded Spill
	v_mul_f64 v[29:30], v[249:250], s[16:17]
	v_mov_b32_e32 v187, v31
	v_mul_f64 v[31:32], v[247:248], s[18:19]
	v_fma_f64 v[27:28], v[205:206], s[4:5], v[211:212]
	v_add_f64 v[201:202], v[148:149], v[201:202]
	buffer_store_dword v215, off, s[48:51], 0 offset:380 ; 4-byte Folded Spill
	s_nop 0
	buffer_store_dword v216, off, s[48:51], 0 offset:384 ; 4-byte Folded Spill
	buffer_store_dword v156, off, s[48:51], 0 offset:388 ; 4-byte Folded Spill
	s_nop 0
	buffer_store_dword v157, off, s[48:51], 0 offset:392 ; 4-byte Folded Spill
	v_mov_b32_e32 v156, v160
	v_mul_f64 v[33:34], v[2:3], s[14:15]
	v_fma_f64 v[215:216], v[223:224], s[42:43], v[29:30]
	v_add_f64 v[25:26], v[197:198], v[25:26]
	v_mul_f64 v[197:198], v[0:1], s[40:41]
	v_mov_b32_e32 v157, v161
	v_fma_f64 v[160:161], v[217:218], s[16:17], v[31:32]
	v_add_f64 v[27:28], v[27:28], v[201:202]
	v_mov_b32_e32 v176, v189
	v_mov_b32_e32 v177, v190
	v_mov_b32_e32 v190, v179
	v_mov_b32_e32 v189, v178
	v_mov_b32_e32 v179, v165
	v_mul_f64 v[201:202], v[4:5], s[22:23]
	v_fma_f64 v[162:163], v[243:244], s[20:21], v[33:34]
	v_add_f64 v[25:26], v[215:216], v[25:26]
	v_mul_f64 v[215:216], v[12:13], s[26:27]
	v_mov_b32_e32 v178, v164
	v_fma_f64 v[164:165], v[237:238], s[14:15], v[197:198]
	v_add_f64 v[27:28], v[160:161], v[27:28]
	v_fma_f64 v[29:30], v[223:224], s[18:19], v[29:30]
	v_add_f64 v[19:20], v[23:24], v[19:20]
	v_fma_f64 v[21:22], v[193:194], s[24:25], -v[21:22]
	v_mov_b32_e32 v160, v166
	v_mov_b32_e32 v161, v167
	v_fma_f64 v[166:167], v[6:7], s[30:31], v[201:202]
	v_add_f64 v[23:24], v[162:163], v[25:26]
	v_fma_f64 v[25:26], v[253:254], s[22:23], v[215:216]
	v_add_f64 v[27:28], v[164:165], v[27:28]
	v_fma_f64 v[33:34], v[243:244], s[40:41], v[33:34]
	v_mul_f64 v[164:165], v[213:214], s[16:17]
	v_add_f64 v[29:30], v[29:30], v[19:20]
	v_fma_f64 v[211:212], v[205:206], s[4:5], -v[211:212]
	v_add_f64 v[168:169], v[148:149], v[21:22]
	v_mul_f64 v[67:68], v[253:254], s[4:5]
	v_add_f64 v[21:22], v[166:167], v[23:24]
	v_add_f64 v[19:20], v[25:26], v[27:28]
	v_mul_f64 v[23:24], v[241:242], s[22:23]
	v_fma_f64 v[27:28], v[207:208], s[42:43], v[164:165]
	v_add_f64 v[29:30], v[33:34], v[29:30]
	v_fma_f64 v[31:32], v[217:218], s[16:17], -v[31:32]
	v_add_f64 v[33:34], v[211:212], v[168:169]
	v_mul_f64 v[211:212], v[209:210], s[18:19]
	buffer_store_dword v67, off, s[48:51], 0 offset:428 ; 4-byte Folded Spill
	s_nop 0
	buffer_store_dword v68, off, s[48:51], 0 offset:432 ; 4-byte Folded Spill
	v_mov_b32_e32 v67, v219
	v_fma_f64 v[25:26], v[6:7], s[26:27], v[201:202]
	v_mul_f64 v[168:169], v[249:250], s[4:5]
	v_fma_f64 v[201:202], v[227:228], s[26:27], v[23:24]
	v_add_f64 v[27:28], v[150:151], v[27:28]
	v_add_f64 v[31:32], v[31:32], v[33:34]
	v_fma_f64 v[33:34], v[207:208], s[18:19], v[164:165]
	v_mov_b32_e32 v68, v220
	v_mul_f64 v[219:220], v[235:236], s[30:31]
	v_fma_f64 v[170:171], v[193:194], s[16:17], v[211:212]
	v_fma_f64 v[166:167], v[253:254], s[22:23], -v[215:216]
	v_fma_f64 v[197:198], v[237:238], s[14:15], -v[197:198]
	v_mul_f64 v[215:216], v[2:3], s[24:25]
	v_fma_f64 v[164:165], v[223:224], s[38:39], v[168:169]
	v_add_f64 v[27:28], v[201:202], v[27:28]
	v_fma_f64 v[23:24], v[227:228], s[30:31], v[23:24]
	v_add_f64 v[33:34], v[150:151], v[33:34]
	;; [unrolled: 2-line block ×3, first 2 shown]
	v_mul_f64 v[201:202], v[4:5], s[14:15]
	v_fma_f64 v[172:173], v[243:244], s[28:29], v[215:216]
	v_add_f64 v[31:32], v[197:198], v[31:32]
	v_add_f64 v[27:28], v[164:165], v[27:28]
	v_fma_f64 v[168:169], v[223:224], s[6:7], v[168:169]
	v_add_f64 v[33:34], v[23:24], v[33:34]
	v_mul_f64 v[197:198], v[0:1], s[36:37]
	v_add_f64 v[170:171], v[225:226], v[170:171]
	v_fma_f64 v[164:165], v[6:7], s[20:21], v[201:202]
	v_add_f64 v[25:26], v[25:26], v[29:30]
	v_add_f64 v[23:24], v[166:167], v[31:32]
	v_add_f64 v[27:28], v[172:173], v[27:28]
	v_fma_f64 v[31:32], v[243:244], s[36:37], v[215:216]
	v_add_f64 v[33:34], v[168:169], v[33:34]
	v_fma_f64 v[168:169], v[237:238], s[24:25], v[197:198]
	v_add_f64 v[170:171], v[174:175], v[170:171]
	v_fma_f64 v[172:173], v[193:194], s[16:17], -v[211:212]
	v_mul_f64 v[174:175], v[241:242], s[24:25]
	v_fma_f64 v[211:212], v[205:206], s[22:23], -v[219:220]
	v_add_f64 v[29:30], v[164:165], v[27:28]
	v_mul_f64 v[27:28], v[213:214], s[22:23]
	v_fma_f64 v[164:165], v[6:7], s[40:41], v[201:202]
	v_add_f64 v[31:32], v[31:32], v[33:34]
	v_add_f64 v[168:169], v[168:169], v[170:171]
	v_mul_f64 v[170:171], v[209:210], s[26:27]
	v_add_f64 v[172:173], v[148:149], v[172:173]
	v_mul_f64 v[213:214], v[235:236], s[28:29]
	v_fma_f64 v[219:220], v[217:218], s[4:5], -v[221:222]
	v_fma_f64 v[201:202], v[207:208], s[30:31], v[27:28]
	v_mul_f64 v[221:222], v[247:248], s[40:41]
	v_add_f64 v[209:210], v[164:165], v[31:32]
	v_mul_f64 v[31:32], v[249:250], s[14:15]
	v_fma_f64 v[215:216], v[193:194], s[22:23], v[170:171]
	v_fma_f64 v[164:165], v[227:228], s[36:37], v[174:175]
	v_add_f64 v[172:173], v[211:212], v[172:173]
	v_fma_f64 v[225:226], v[205:206], s[24:25], v[213:214]
	v_add_f64 v[201:202], v[150:151], v[201:202]
	v_fma_f64 v[27:28], v[207:208], s[26:27], v[27:28]
	v_fma_f64 v[174:175], v[227:228], s[28:29], v[174:175]
	;; [unrolled: 1-line block ×3, first 2 shown]
	v_add_f64 v[215:216], v[148:149], v[215:216]
	v_fma_f64 v[31:32], v[223:224], s[40:41], v[31:32]
	v_add_f64 v[172:173], v[219:220], v[172:173]
	v_fma_f64 v[219:220], v[217:218], s[14:15], v[221:222]
	v_add_f64 v[164:165], v[164:165], v[201:202]
	v_add_f64 v[27:28], v[150:151], v[27:28]
	v_fma_f64 v[170:171], v[193:194], s[22:23], -v[170:171]
	v_add_f64 v[193:194], v[150:151], v[195:196]
	v_add_f64 v[215:216], v[225:226], v[215:216]
	v_mul_f64 v[0:1], v[0:1], s[6:7]
	v_mul_f64 v[2:3], v[2:3], s[4:5]
	;; [unrolled: 1-line block ×3, first 2 shown]
	v_add_f64 v[164:165], v[211:212], v[164:165]
	v_add_f64 v[27:28], v[174:175], v[27:28]
	buffer_load_dword v174, off, s[48:51], 0 offset:348 ; 4-byte Folded Reload
	buffer_load_dword v175, off, s[48:51], 0 offset:352 ; 4-byte Folded Reload
	v_mul_f64 v[166:167], v[12:13], s[40:41]
	v_add_f64 v[211:212], v[219:220], v[215:216]
	v_add_f64 v[215:216], v[150:151], v[178:179]
	v_fma_f64 v[207:208], v[237:238], s[4:5], v[0:1]
	v_add_f64 v[219:220], v[148:149], v[229:230]
	v_fma_f64 v[201:202], v[243:244], s[38:39], v[2:3]
	;; [unrolled: 2-line block ×3, first 2 shown]
	v_mul_f64 v[12:13], v[12:13], s[18:19]
	v_fma_f64 v[197:198], v[237:238], s[24:25], -v[197:198]
	v_add_f64 v[195:196], v[215:216], v[156:157]
	buffer_load_dword v156, off, s[48:51], 0 offset:452 ; 4-byte Folded Reload
	buffer_load_dword v157, off, s[48:51], 0 offset:456 ; 4-byte Folded Reload
	;; [unrolled: 1-line block ×4, first 2 shown]
	v_add_f64 v[211:212], v[207:208], v[211:212]
	v_add_f64 v[164:165], v[201:202], v[164:165]
	;; [unrolled: 1-line block ×3, first 2 shown]
	v_fma_f64 v[201:202], v[253:254], s[16:17], v[12:13]
	v_mul_f64 v[4:5], v[4:5], s[16:17]
	v_fma_f64 v[205:206], v[205:206], s[24:25], -v[213:214]
	v_add_f64 v[170:171], v[148:149], v[170:171]
	v_add_f64 v[172:173], v[197:198], v[172:173]
	v_fma_f64 v[0:1], v[237:238], s[4:5], -v[0:1]
	v_fma_f64 v[33:34], v[253:254], s[14:15], v[166:167]
	v_fma_f64 v[166:167], v[253:254], s[14:15], -v[166:167]
	v_fma_f64 v[197:198], v[6:7], s[42:43], v[4:5]
	v_fma_f64 v[4:5], v[6:7], s[18:19], v[4:5]
	v_fma_f64 v[6:7], v[217:218], s[14:15], -v[221:222]
	v_add_f64 v[170:171], v[205:206], v[170:171]
	v_add_f64 v[2:3], v[4:5], v[2:3]
	;; [unrolled: 1-line block ×4, first 2 shown]
	s_waitcnt vmcnt(4)
	v_add_f64 v[174:175], v[199:200], v[174:175]
	v_add_f64 v[174:175], v[174:175], v[193:194]
	;; [unrolled: 1-line block ×3, first 2 shown]
	s_waitcnt vmcnt(2)
	v_add_f64 v[207:208], v[219:220], v[156:157]
	s_waitcnt vmcnt(0)
	v_add_f64 v[31:32], v[65:66], v[31:32]
	buffer_load_dword v65, off, s[48:51], 0 offset:436 ; 4-byte Folded Reload
	buffer_load_dword v66, off, s[48:51], 0 offset:440 ; 4-byte Folded Reload
	;; [unrolled: 1-line block ×4, first 2 shown]
	v_add_f64 v[31:32], v[31:32], v[174:175]
	s_waitcnt vmcnt(2)
	v_add_f64 v[195:196], v[207:208], v[65:66]
	buffer_load_dword v65, off, s[48:51], 0 offset:444 ; 4-byte Folded Reload
	buffer_load_dword v66, off, s[48:51], 0 offset:448 ; 4-byte Folded Reload
	s_waitcnt vmcnt(2)
	v_add_f64 v[27:28], v[69:70], v[27:28]
	v_add_f64 v[207:208], v[166:167], v[172:173]
	;; [unrolled: 1-line block ×3, first 2 shown]
	s_waitcnt vmcnt(0)
	v_add_f64 v[174:175], v[193:194], v[65:66]
	buffer_load_dword v65, off, s[48:51], 0 offset:404 ; 4-byte Folded Reload
	buffer_load_dword v66, off, s[48:51], 0 offset:408 ; 4-byte Folded Reload
	v_add_f64 v[31:32], v[174:175], v[180:181]
	v_add_f64 v[31:32], v[31:32], v[231:232]
	;; [unrolled: 1-line block ×3, first 2 shown]
	s_waitcnt vmcnt(0)
	v_add_f64 v[193:194], v[195:196], v[65:66]
	v_fma_f64 v[195:196], v[253:254], s[16:17], -v[12:13]
	v_add_f64 v[12:13], v[16:17], v[162:163]
	buffer_load_dword v16, off, s[48:51], 0 offset:292 ; 4-byte Folded Reload
	buffer_load_dword v17, off, s[48:51], 0 offset:296 ; 4-byte Folded Reload
	buffer_load_dword v65, off, s[48:51], 0 offset:412 ; 4-byte Folded Reload
	buffer_load_dword v66, off, s[48:51], 0 offset:416 ; 4-byte Folded Reload
	v_add_f64 v[0:1], v[195:196], v[0:1]
	v_add_f64 v[6:7], v[12:13], v[27:28]
	;; [unrolled: 1-line block ×3, first 2 shown]
	s_waitcnt vmcnt(2)
	v_add_f64 v[16:17], v[140:141], v[16:17]
	s_waitcnt vmcnt(0)
	v_add_f64 v[162:163], v[193:194], v[65:66]
	buffer_load_dword v65, off, s[48:51], 0 offset:260 ; 4-byte Folded Reload
	buffer_load_dword v66, off, s[48:51], 0 offset:264 ; 4-byte Folded Reload
	v_add_f64 v[140:141], v[201:202], v[211:212]
	v_add_f64 v[16:17], v[150:151], v[16:17]
	;; [unrolled: 1-line block ×6, first 2 shown]
	s_waitcnt vmcnt(0)
	v_add_f64 v[170:171], v[65:66], -v[189:190]
	buffer_load_dword v65, off, s[48:51], 0 offset:268 ; 4-byte Folded Reload
	buffer_load_dword v66, off, s[48:51], 0 offset:272 ; 4-byte Folded Reload
	v_add_f64 v[170:171], v[148:149], v[170:171]
	s_waitcnt vmcnt(0)
	v_add_f64 v[174:175], v[65:66], -v[182:183]
	buffer_load_dword v65, off, s[48:51], 0 offset:284 ; 4-byte Folded Reload
	buffer_load_dword v66, off, s[48:51], 0 offset:288 ; 4-byte Folded Reload
	v_add_f64 v[148:149], v[148:149], v[174:175]
	s_waitcnt vmcnt(0)
	v_add_f64 v[187:188], v[65:66], -v[176:177]
	buffer_load_dword v65, off, s[48:51], 0 offset:276 ; 4-byte Folded Reload
	buffer_load_dword v66, off, s[48:51], 0 offset:280 ; 4-byte Folded Reload
	;; [unrolled: 1-line block ×4, first 2 shown]
	v_add_f64 v[148:149], v[187:188], v[148:149]
	s_waitcnt vmcnt(0)
	v_add_f64 v[189:190], v[69:70], v[65:66]
	buffer_load_dword v65, off, s[48:51], 0 offset:252 ; 4-byte Folded Reload
	buffer_load_dword v66, off, s[48:51], 0 offset:256 ; 4-byte Folded Reload
	v_add_f64 v[16:17], v[189:190], v[16:17]
	s_waitcnt vmcnt(0)
	v_add_f64 v[150:151], v[65:66], -v[185:186]
	buffer_load_dword v65, off, s[48:51], 0 offset:324 ; 4-byte Folded Reload
	buffer_load_dword v66, off, s[48:51], 0 offset:328 ; 4-byte Folded Reload
	;; [unrolled: 1-line block ×4, first 2 shown]
	v_add_f64 v[150:151], v[150:151], v[170:171]
	s_waitcnt vmcnt(0)
	v_add_f64 v[174:175], v[65:66], -v[69:70]
	buffer_load_dword v65, off, s[48:51], 0 offset:244 ; 4-byte Folded Reload
	buffer_load_dword v66, off, s[48:51], 0 offset:248 ; 4-byte Folded Reload
	v_add_f64 v[148:149], v[174:175], v[148:149]
	s_waitcnt vmcnt(0)
	v_add_f64 v[182:183], v[203:204], v[65:66]
	buffer_load_dword v65, off, s[48:51], 0 offset:236 ; 4-byte Folded Reload
	buffer_load_dword v66, off, s[48:51], 0 offset:240 ; 4-byte Folded Reload
	;; [unrolled: 1-line block ×4, first 2 shown]
	v_add_f64 v[16:17], v[182:183], v[16:17]
	s_waitcnt vmcnt(0)
	v_add_f64 v[185:186], v[65:66], -v[69:70]
	buffer_load_dword v65, off, s[48:51], 0 offset:316 ; 4-byte Folded Reload
	buffer_load_dword v66, off, s[48:51], 0 offset:320 ; 4-byte Folded Reload
	v_add_f64 v[150:151], v[185:186], v[150:151]
	s_waitcnt vmcnt(0)
	v_add_f64 v[170:171], v[65:66], -v[63:64]
	buffer_load_dword v63, off, s[48:51], 0 offset:308 ; 4-byte Folded Reload
	buffer_load_dword v64, off, s[48:51], 0 offset:312 ; 4-byte Folded Reload
	v_add_f64 v[148:149], v[170:171], v[148:149]
	s_waitcnt vmcnt(0)
	v_add_f64 v[178:179], v[67:68], v[63:64]
	buffer_load_dword v63, off, s[48:51], 0 offset:300 ; 4-byte Folded Reload
	buffer_load_dword v64, off, s[48:51], 0 offset:304 ; 4-byte Folded Reload
	;; [unrolled: 1-line block ×4, first 2 shown]
	s_waitcnt vmcnt(0)
	v_add_f64 v[180:181], v[63:64], -v[65:66]
	buffer_load_dword v63, off, s[48:51], 0 offset:388 ; 4-byte Folded Reload
	buffer_load_dword v64, off, s[48:51], 0 offset:392 ; 4-byte Folded Reload
	v_add_f64 v[150:151], v[180:181], v[150:151]
	s_waitcnt vmcnt(0)
	v_add_f64 v[31:32], v[31:32], v[63:64]
	buffer_load_dword v63, off, s[48:51], 0 offset:428 ; 4-byte Folded Reload
	buffer_load_dword v64, off, s[48:51], 0 offset:432 ; 4-byte Folded Reload
	s_waitcnt vmcnt(0)
	v_add_f64 v[160:161], v[63:64], -v[14:15]
	buffer_load_dword v14, off, s[48:51], 0 offset:340 ; 4-byte Folded Reload
	buffer_load_dword v15, off, s[48:51], 0 offset:344 ; 4-byte Folded Reload
	s_waitcnt vmcnt(0)
	v_add_f64 v[10:11], v[10:11], v[14:15]
	v_add_f64 v[14:15], v[178:179], v[16:17]
	buffer_load_dword v16, off, s[48:51], 0 offset:332 ; 4-byte Folded Reload
	buffer_load_dword v17, off, s[48:51], 0 offset:336 ; 4-byte Folded Reload
	;; [unrolled: 1-line block ×4, first 2 shown]
	v_add_f64 v[10:11], v[10:11], v[14:15]
	s_waitcnt vmcnt(2)
	v_add_f64 v[8:9], v[16:17], -v[8:9]
	v_add_f64 v[16:17], v[31:32], v[191:192]
	v_add_f64 v[31:32], v[156:157], v[158:159]
	;; [unrolled: 1-line block ×4, first 2 shown]
	s_waitcnt vmcnt(0)
	v_add_f64 v[12:13], v[31:32], v[4:5]
	v_add_f64 v[4:5], v[160:161], v[148:149]
	ds_write_b128 v18, v[12:15]
	ds_write_b128 v18, v[8:11] offset:1584
	ds_write_b128 v18, v[4:7] offset:3168
	;; [unrolled: 1-line block ×10, first 2 shown]
.LBB0_9:
	s_or_b64 exec, exec, s[34:35]
	v_lshlrev_b32_e32 v0, 4, v255
	v_mov_b32_e32 v1, s13
	v_add_co_u32_e32 v31, vcc, s12, v0
	v_addc_co_u32_e32 v32, vcc, 0, v1, vcc
	s_movk_i32 s4, 0x4410
	v_add_co_u32_e32 v16, vcc, s4, v31
	v_addc_co_u32_e32 v17, vcc, 0, v32, vcc
	s_movk_i32 s4, 0x4000
	;; [unrolled: 3-line block ×4, first 2 shown]
	v_add_co_u32_e32 v19, vcc, s4, v31
	v_addc_co_u32_e32 v20, vcc, 0, v32, vcc
	s_mov_b32 s4, 0x8000
	v_add_co_u32_e32 v23, vcc, s4, v31
	s_waitcnt lgkmcnt(0)
	s_barrier
	global_load_dwordx4 v[0:3], v[0:1], off offset:1040
	s_nop 0
	global_load_dwordx4 v[4:7], v[8:9], off offset:368
	s_nop 0
	;; [unrolled: 2-line block ×4, first 2 shown]
	global_load_dwordx4 v[19:22], v[19:20], off offset:2528
	v_addc_co_u32_e32 v24, vcc, 0, v32, vcc
	global_load_dwordx4 v[23:26], v[23:24], off offset:144
	s_movk_i32 s4, 0x5000
	global_load_dwordx4 v[27:30], v[16:17], off offset:1936
	global_load_dwordx4 v[140:143], v[16:17], off offset:3872
	v_add_co_u32_e32 v16, vcc, s4, v31
	v_addc_co_u32_e32 v17, vcc, 0, v32, vcc
	global_load_dwordx4 v[148:151], v[16:17], off offset:2752
	ds_read_b128 v[156:159], v18
	ds_read_b128 v[160:163], v18 offset:1936
	ds_read_b128 v[164:167], v18 offset:11616
	;; [unrolled: 1-line block ×8, first 2 shown]
	s_mov_b32 s4, 0xe8584caa
	s_mov_b32 s5, 0xbfebb67a
	;; [unrolled: 1-line block ×4, first 2 shown]
	s_waitcnt vmcnt(7) lgkmcnt(6)
	v_mul_f64 v[16:17], v[166:167], v[6:7]
	v_mul_f64 v[6:7], v[164:165], v[6:7]
	s_waitcnt vmcnt(5) lgkmcnt(2)
	v_mul_f64 v[31:32], v[182:183], v[14:15]
	v_mul_f64 v[14:15], v[180:181], v[14:15]
	v_mul_f64 v[33:34], v[170:171], v[10:11]
	v_mul_f64 v[193:194], v[168:169], v[10:11]
	s_waitcnt vmcnt(3) lgkmcnt(0)
	v_mul_f64 v[197:198], v[191:192], v[25:26]
	v_mul_f64 v[199:200], v[189:190], v[25:26]
	s_waitcnt vmcnt(2)
	v_mul_f64 v[25:26], v[162:163], v[29:30]
	v_mul_f64 v[29:30], v[160:161], v[29:30]
	s_waitcnt vmcnt(1)
	v_mul_f64 v[201:202], v[178:179], v[142:143]
	v_mul_f64 v[142:143], v[176:177], v[142:143]
	;; [unrolled: 1-line block ×4, first 2 shown]
	s_waitcnt vmcnt(0)
	v_mul_f64 v[207:208], v[174:175], v[150:151]
	v_mul_f64 v[150:151], v[172:173], v[150:151]
	v_mul_f64 v[195:196], v[187:188], v[21:22]
	v_mul_f64 v[21:22], v[185:186], v[21:22]
	v_fma_f64 v[2:3], v[164:165], v[4:5], -v[16:17]
	v_fma_f64 v[4:5], v[166:167], v[4:5], v[6:7]
	v_fma_f64 v[10:11], v[180:181], v[12:13], -v[31:32]
	v_fma_f64 v[12:13], v[182:183], v[12:13], v[14:15]
	;; [unrolled: 2-line block ×9, first 2 shown]
	ds_write_b128 v18, v[2:5] offset:11616
	ds_write_b128 v18, v[10:13] offset:7744
	;; [unrolled: 1-line block ×5, first 2 shown]
	ds_write_b128 v18, v[140:143]
	ds_write_b128 v18, v[156:159] offset:5808
	ds_write_b128 v18, v[14:17] offset:9680
	ds_write_b128 v18, v[19:22] offset:15488
	s_waitcnt lgkmcnt(0)
	s_barrier
	ds_read_b128 v[0:3], v18 offset:5808
	ds_read_b128 v[4:7], v18 offset:11616
	;; [unrolled: 1-line block ×4, first 2 shown]
	ds_read_b128 v[19:22], v18
	ds_read_b128 v[23:26], v18 offset:1936
	ds_read_b128 v[27:30], v18 offset:7744
	;; [unrolled: 1-line block ×3, first 2 shown]
	s_waitcnt lgkmcnt(6)
	v_add_f64 v[16:17], v[0:1], v[4:5]
	v_add_f64 v[33:34], v[2:3], v[6:7]
	s_waitcnt lgkmcnt(3)
	v_add_f64 v[31:32], v[19:20], v[0:1]
	v_add_f64 v[0:1], v[0:1], -v[4:5]
	ds_read_b128 v[176:179], v18 offset:15488
	s_waitcnt lgkmcnt(0)
	s_barrier
	v_fma_f64 v[16:17], v[16:17], -0.5, v[19:20]
	v_add_f64 v[19:20], v[2:3], -v[6:7]
	v_add_f64 v[2:3], v[21:22], v[2:3]
	v_fma_f64 v[21:22], v[33:34], -0.5, v[21:22]
	v_add_f64 v[140:141], v[31:32], v[4:5]
	v_add_f64 v[4:5], v[23:24], v[27:28]
	v_add_f64 v[31:32], v[27:28], v[8:9]
	v_fma_f64 v[148:149], v[19:20], s[4:5], v[16:17]
	v_fma_f64 v[156:157], v[19:20], s[6:7], v[16:17]
	;; [unrolled: 1-line block ×4, first 2 shown]
	v_add_f64 v[0:1], v[162:163], v[176:177]
	v_add_f64 v[168:169], v[4:5], v[8:9]
	;; [unrolled: 1-line block ×8, first 2 shown]
	v_fma_f64 v[0:1], v[0:1], -0.5, v[12:13]
	v_add_f64 v[12:13], v[164:165], -v[178:179]
	v_fma_f64 v[4:5], v[4:5], -0.5, v[14:15]
	v_add_f64 v[14:15], v[162:163], -v[176:177]
	v_add_f64 v[180:181], v[16:17], v[176:177]
	v_fma_f64 v[23:24], v[31:32], -0.5, v[23:24]
	v_add_f64 v[31:32], v[29:30], -v[10:11]
	v_fma_f64 v[2:3], v[2:3], -0.5, v[25:26]
	v_add_f64 v[8:9], v[27:28], -v[8:9]
	v_fma_f64 v[176:177], v[12:13], s[4:5], v[0:1]
	v_fma_f64 v[164:165], v[12:13], s[6:7], v[0:1]
	buffer_load_dword v0, off, s[48:51], 0 offset:160 ; 4-byte Folded Reload
	v_add_f64 v[170:171], v[6:7], v[10:11]
	v_add_f64 v[182:183], v[19:20], v[178:179]
	v_fma_f64 v[160:161], v[31:32], s[4:5], v[23:24]
	v_fma_f64 v[172:173], v[31:32], s[6:7], v[23:24]
	;; [unrolled: 1-line block ×6, first 2 shown]
	s_waitcnt vmcnt(0)
	ds_write_b128 v0, v[140:143]
	ds_write_b128 v0, v[148:151] offset:16
	ds_write_b128 v0, v[156:159] offset:32
	buffer_load_dword v0, off, s[48:51], 0 offset:168 ; 4-byte Folded Reload
	s_waitcnt vmcnt(0)
	ds_write_b128 v0, v[168:171]
	ds_write_b128 v0, v[160:163] offset:16
	ds_write_b128 v0, v[172:175] offset:32
	buffer_load_dword v0, off, s[48:51], 0 offset:176 ; 4-byte Folded Reload
	s_waitcnt vmcnt(0)
	ds_write_b128 v0, v[180:183]
	ds_write_b128 v0, v[176:179] offset:16
	ds_write_b128 v0, v[164:167] offset:32
	s_waitcnt lgkmcnt(0)
	s_barrier
	s_and_saveexec_b64 s[4:5], s[0:1]
	s_cbranch_execz .LBB0_11
; %bb.10:
	ds_read_b128 v[140:143], v18
	ds_read_b128 v[148:151], v18 offset:1584
	ds_read_b128 v[156:159], v18 offset:3168
	;; [unrolled: 1-line block ×10, first 2 shown]
.LBB0_11:
	s_or_b64 exec, exec, s[4:5]
	s_waitcnt lgkmcnt(9)
	v_mul_f64 v[2:3], v[53:54], v[148:149]
	s_waitcnt lgkmcnt(7)
	v_mul_f64 v[8:9], v[45:46], v[170:171]
	v_mul_f64 v[10:11], v[45:46], v[168:169]
	;; [unrolled: 1-line block ×3, first 2 shown]
	s_waitcnt lgkmcnt(0)
	v_mul_f64 v[12:13], v[74:75], v[154:155]
	v_mul_f64 v[4:5], v[49:50], v[158:159]
	;; [unrolled: 1-line block ×4, first 2 shown]
	v_fma_f64 v[189:190], v[51:52], v[150:151], -v[2:3]
	v_fma_f64 v[150:151], v[43:44], v[168:169], v[8:9]
	v_fma_f64 v[168:169], v[43:44], v[170:171], -v[10:11]
	v_mul_f64 v[8:9], v[74:75], v[152:153]
	v_mul_f64 v[10:11], v[57:58], v[182:183]
	v_fma_f64 v[187:188], v[51:52], v[148:149], v[0:1]
	v_mul_f64 v[0:1], v[37:38], v[162:163]
	v_mul_f64 v[2:3], v[37:38], v[160:161]
	v_fma_f64 v[185:186], v[47:48], v[156:157], v[4:5]
	v_fma_f64 v[158:159], v[47:48], v[158:159], -v[6:7]
	v_mul_f64 v[6:7], v[61:62], v[172:173]
	v_fma_f64 v[154:155], v[72:73], v[154:155], -v[8:9]
	v_fma_f64 v[74:75], v[55:56], v[180:181], v[10:11]
	buffer_load_dword v8, off, s[48:51], 0 offset:192 ; 4-byte Folded Reload
	buffer_load_dword v9, off, s[48:51], 0 offset:196 ; 4-byte Folded Reload
	;; [unrolled: 1-line block ×4, first 2 shown]
	v_fma_f64 v[156:157], v[35:36], v[160:161], v[0:1]
	v_fma_f64 v[160:161], v[35:36], v[162:163], -v[2:3]
	v_fma_f64 v[72:73], v[72:73], v[152:153], v[12:13]
	v_mul_f64 v[4:5], v[61:62], v[174:175]
	v_fma_f64 v[162:163], v[59:60], v[174:175], -v[6:7]
	v_add_f64 v[193:194], v[189:190], v[154:155]
	s_mov_b32 s6, 0x8764f0ba
	s_mov_b32 s20, 0xf8bb580b
	;; [unrolled: 1-line block ×4, first 2 shown]
	v_fma_f64 v[152:153], v[55:56], v[182:183], -v[14:15]
	v_fma_f64 v[148:149], v[59:60], v[172:173], v[4:5]
	v_add_f64 v[60:61], v[189:190], -v[154:155]
	v_add_f64 v[182:183], v[187:188], v[72:73]
	v_add_f64 v[62:63], v[187:188], -v[72:73]
	v_mul_f64 v[174:175], v[193:194], s[6:7]
	s_mov_b32 s12, 0xd9c712b6
	s_mov_b32 s13, 0x3fda9628
	s_mov_b32 s25, 0xbfed1bb4
	s_mov_b32 s24, 0x8eee2c13
	v_mul_f64 v[172:173], v[60:61], s[20:21]
	v_mul_f64 v[180:181], v[193:194], s[12:13]
	s_mov_b32 s14, 0x7f775887
	s_mov_b32 s26, 0xbb3a28a1
	;; [unrolled: 1-line block ×11, first 2 shown]
	v_add_f64 v[245:246], v[162:163], -v[152:153]
	v_add_f64 v[235:236], v[162:163], v[152:153]
	s_mov_b32 s35, 0xbfd207e7
	s_mov_b32 s34, s28
	;; [unrolled: 1-line block ×4, first 2 shown]
	v_add_f64 v[219:220], v[148:149], v[74:75]
	v_mul_f64 v[207:208], v[245:246], s[34:35]
	v_mul_f64 v[209:210], v[235:236], s[18:19]
	;; [unrolled: 1-line block ×4, first 2 shown]
	s_waitcnt vmcnt(0)
	v_mul_f64 v[0:1], v[10:11], v[178:179]
	v_mul_f64 v[2:3], v[10:11], v[176:177]
	buffer_load_dword v10, off, s[48:51], 0 offset:212 ; 4-byte Folded Reload
	buffer_load_dword v11, off, s[48:51], 0 offset:216 ; 4-byte Folded Reload
	;; [unrolled: 1-line block ×4, first 2 shown]
	s_waitcnt vmcnt(0)
	s_barrier
	v_fma_f64 v[66:67], v[8:9], v[176:177], v[0:1]
	v_fma_f64 v[170:171], v[8:9], v[178:179], -v[2:3]
	v_mul_f64 v[2:3], v[41:42], v[164:165]
	v_mul_f64 v[0:1], v[41:42], v[166:167]
	;; [unrolled: 1-line block ×3, first 2 shown]
	v_fma_f64 v[8:9], v[62:63], s[24:25], v[180:181]
	v_add_f64 v[249:250], v[156:157], v[66:67]
	v_add_f64 v[241:242], v[160:161], -v[170:171]
	v_add_f64 v[223:224], v[160:161], v[170:171]
	v_fma_f64 v[68:69], v[39:40], v[164:165], v[0:1]
	v_add_f64 v[8:9], v[142:143], v[8:9]
	v_mul_f64 v[197:198], v[241:242], s[26:27]
	v_mul_f64 v[201:202], v[223:224], s[14:15]
	v_add_f64 v[211:212], v[150:151], v[68:69]
	v_add_f64 v[0:1], v[150:151], -v[68:69]
	v_mul_f64 v[205:206], v[241:242], s[30:31]
	v_mul_f64 v[251:252], v[223:224], s[16:17]
	v_fma_f64 v[19:20], v[249:250], s[16:17], -v[205:206]
	v_mul_f64 v[6:7], v[12:13], v[144:145]
	v_mul_f64 v[4:5], v[12:13], v[146:147]
	v_fma_f64 v[70:71], v[10:11], v[146:147], -v[6:7]
	v_fma_f64 v[64:65], v[10:11], v[144:145], v[4:5]
	v_fma_f64 v[144:145], v[39:40], v[166:167], -v[2:3]
	v_fma_f64 v[4:5], v[182:183], s[6:7], -v[172:173]
	v_fma_f64 v[6:7], v[62:63], s[20:21], v[174:175]
	v_add_f64 v[237:238], v[158:159], -v[70:71]
	v_add_f64 v[217:218], v[158:159], v[70:71]
	v_add_f64 v[199:200], v[185:186], v[64:65]
	v_add_f64 v[243:244], v[185:186], -v[64:65]
	v_add_f64 v[239:240], v[168:169], -v[144:145]
	v_add_f64 v[213:214], v[168:169], v[144:145]
	v_add_f64 v[2:3], v[140:141], v[4:5]
	;; [unrolled: 1-line block ×3, first 2 shown]
	v_mul_f64 v[146:147], v[237:238], s[24:25]
	v_mul_f64 v[176:177], v[217:218], s[12:13]
	v_fma_f64 v[6:7], v[182:183], s[12:13], -v[178:179]
	v_mul_f64 v[164:165], v[237:238], s[26:27]
	v_mul_f64 v[203:204], v[217:218], s[14:15]
	;; [unrolled: 1-line block ×5, first 2 shown]
	v_fma_f64 v[10:11], v[199:200], s[12:13], -v[146:147]
	v_fma_f64 v[12:13], v[243:244], s[24:25], v[176:177]
	v_add_f64 v[6:7], v[140:141], v[6:7]
	v_mul_f64 v[225:226], v[213:214], s[18:19]
	v_fma_f64 v[14:15], v[211:212], s[16:17], -v[166:167]
	v_fma_f64 v[16:17], v[0:1], s[22:23], v[191:192]
	v_add_f64 v[2:3], v[10:11], v[2:3]
	v_add_f64 v[4:5], v[12:13], v[4:5]
	v_fma_f64 v[10:11], v[199:200], s[14:15], -v[164:165]
	v_fma_f64 v[12:13], v[243:244], s[26:27], v[203:204]
	v_add_f64 v[6:7], v[10:11], v[6:7]
	v_add_f64 v[8:9], v[12:13], v[8:9]
	;; [unrolled: 1-line block ×4, first 2 shown]
	v_fma_f64 v[4:5], v[211:212], s[18:19], -v[195:196]
	v_fma_f64 v[14:15], v[0:1], s[28:29], v[225:226]
	v_add_f64 v[2:3], v[156:157], -v[66:67]
	v_add_f64 v[6:7], v[4:5], v[6:7]
	v_add_f64 v[8:9], v[14:15], v[8:9]
	v_fma_f64 v[14:15], v[249:250], s[14:15], -v[197:198]
	v_fma_f64 v[16:17], v[2:3], s[26:27], v[201:202]
	v_fma_f64 v[21:22], v[2:3], s[30:31], v[251:252]
	v_add_f64 v[4:5], v[148:149], -v[74:75]
	v_add_f64 v[6:7], v[19:20], v[6:7]
	v_fma_f64 v[19:20], v[219:220], s[6:7], -v[215:216]
	v_add_f64 v[10:11], v[14:15], v[10:11]
	v_add_f64 v[12:13], v[16:17], v[12:13]
	;; [unrolled: 1-line block ×3, first 2 shown]
	v_fma_f64 v[14:15], v[219:220], s[18:19], -v[207:208]
	v_fma_f64 v[16:17], v[4:5], s[34:35], v[209:210]
	v_fma_f64 v[21:22], v[4:5], s[36:37], v[221:222]
	v_add_f64 v[36:37], v[19:20], v[6:7]
	v_add_f64 v[40:41], v[14:15], v[10:11]
	;; [unrolled: 1-line block ×4, first 2 shown]
	s_and_saveexec_b64 s[4:5], s[0:1]
	s_cbranch_execz .LBB0_13
; %bb.12:
	v_mul_f64 v[6:7], v[182:183], s[6:7]
	v_mul_f64 v[23:24], v[62:63], s[34:35]
	;; [unrolled: 1-line block ×8, first 2 shown]
	buffer_store_dword v6, off, s[48:51], 0 offset:160 ; 4-byte Folded Spill
	s_nop 0
	buffer_store_dword v7, off, s[48:51], 0 offset:164 ; 4-byte Folded Spill
	v_mul_f64 v[6:7], v[62:63], s[20:21]
	v_fma_f64 v[25:26], v[193:194], s[18:19], v[23:24]
	v_fma_f64 v[21:22], v[217:218], s[6:7], v[19:20]
	;; [unrolled: 1-line block ×3, first 2 shown]
	v_fma_f64 v[44:45], v[182:183], s[18:19], -v[33:34]
	v_fma_f64 v[31:32], v[199:200], s[6:7], -v[29:30]
	v_mul_f64 v[227:228], v[4:5], s[36:37]
	v_mul_f64 v[233:234], v[243:244], s[26:27]
	buffer_store_dword v6, off, s[48:51], 0 offset:192 ; 4-byte Folded Spill
	s_nop 0
	buffer_store_dword v7, off, s[48:51], 0 offset:196 ; 4-byte Folded Spill
	v_mul_f64 v[6:7], v[182:183], s[12:13]
	v_add_f64 v[25:26], v[142:143], v[25:26]
	v_mul_f64 v[247:248], v[249:250], s[16:17]
	v_add_f64 v[44:45], v[140:141], v[44:45]
	v_mul_f64 v[253:254], v[219:220], s[6:7]
	buffer_store_dword v6, off, s[48:51], 0 offset:252 ; 4-byte Folded Spill
	s_nop 0
	buffer_store_dword v7, off, s[48:51], 0 offset:256 ; 4-byte Folded Spill
	v_mul_f64 v[6:7], v[62:63], s[24:25]
	v_add_f64 v[21:22], v[21:22], v[25:26]
	v_mul_f64 v[25:26], v[239:240], s[26:27]
	v_add_f64 v[31:32], v[31:32], v[44:45]
	buffer_store_dword v6, off, s[48:51], 0 offset:292 ; 4-byte Folded Spill
	s_nop 0
	buffer_store_dword v7, off, s[48:51], 0 offset:296 ; 4-byte Folded Spill
	v_mul_f64 v[6:7], v[199:200], s[12:13]
	v_add_f64 v[16:17], v[16:17], v[21:22]
	v_fma_f64 v[27:28], v[211:212], s[14:15], -v[25:26]
	buffer_store_dword v6, off, s[48:51], 0 offset:168 ; 4-byte Folded Spill
	s_nop 0
	buffer_store_dword v7, off, s[48:51], 0 offset:172 ; 4-byte Folded Spill
	v_mul_f64 v[6:7], v[243:244], s[24:25]
	s_mov_b32 s25, 0x3fed1bb4
	v_mul_f64 v[10:11], v[2:3], s[24:25]
	v_add_f64 v[27:28], v[27:28], v[31:32]
	buffer_store_dword v6, off, s[48:51], 0 offset:228 ; 4-byte Folded Spill
	s_nop 0
	buffer_store_dword v7, off, s[48:51], 0 offset:232 ; 4-byte Folded Spill
	v_mul_f64 v[6:7], v[199:200], s[14:15]
	v_fma_f64 v[12:13], v[223:224], s[12:13], v[10:11]
	v_fma_f64 v[10:11], v[223:224], s[12:13], -v[10:11]
	buffer_store_dword v6, off, s[48:51], 0 offset:268 ; 4-byte Folded Spill
	s_nop 0
	buffer_store_dword v7, off, s[48:51], 0 offset:272 ; 4-byte Folded Spill
	v_mul_f64 v[6:7], v[211:212], s[16:17]
	v_add_f64 v[12:13], v[12:13], v[16:17]
	v_mul_f64 v[16:17], v[241:242], s[24:25]
	buffer_store_dword v6, off, s[48:51], 0 offset:176 ; 4-byte Folded Spill
	s_nop 0
	buffer_store_dword v7, off, s[48:51], 0 offset:180 ; 4-byte Folded Spill
	v_mul_f64 v[6:7], v[0:1], s[22:23]
	v_fma_f64 v[21:22], v[249:250], s[12:13], -v[16:17]
	buffer_store_dword v6, off, s[48:51], 0 offset:244 ; 4-byte Folded Spill
	s_nop 0
	buffer_store_dword v7, off, s[48:51], 0 offset:248 ; 4-byte Folded Spill
	v_mul_f64 v[6:7], v[211:212], s[18:19]
	v_add_f64 v[21:22], v[21:22], v[27:28]
	buffer_store_dword v6, off, s[48:51], 0 offset:284 ; 4-byte Folded Spill
	s_nop 0
	buffer_store_dword v7, off, s[48:51], 0 offset:288 ; 4-byte Folded Spill
	v_mul_f64 v[6:7], v[249:250], s[14:15]
	buffer_store_dword v6, off, s[48:51], 0 offset:212 ; 4-byte Folded Spill
	s_nop 0
	buffer_store_dword v7, off, s[48:51], 0 offset:216 ; 4-byte Folded Spill
	v_mul_f64 v[6:7], v[2:3], s[26:27]
	;; [unrolled: 4-line block ×5, first 2 shown]
	v_fma_f64 v[8:9], v[235:236], s[16:17], v[6:7]
	v_fma_f64 v[6:7], v[235:236], s[16:17], -v[6:7]
	v_add_f64 v[46:47], v[8:9], v[12:13]
	v_mul_f64 v[8:9], v[245:246], s[22:23]
	v_fma_f64 v[12:13], v[219:220], s[16:17], -v[8:9]
	v_add_f64 v[44:45], v[12:13], v[21:22]
	v_fma_f64 v[12:13], v[213:214], s[14:15], -v[14:15]
	v_fma_f64 v[14:15], v[217:218], s[6:7], -v[19:20]
	;; [unrolled: 1-line block ×3, first 2 shown]
	v_mul_f64 v[23:24], v[62:63], s[26:27]
	v_add_f64 v[19:20], v[142:143], v[19:20]
	v_add_f64 v[14:15], v[14:15], v[19:20]
	v_mul_f64 v[19:20], v[243:244], s[30:31]
	v_add_f64 v[12:13], v[12:13], v[14:15]
	v_fma_f64 v[14:15], v[182:183], s[18:19], v[33:34]
	v_fma_f64 v[21:22], v[217:218], s[16:17], v[19:20]
	v_mul_f64 v[33:34], v[60:61], s[26:27]
	v_add_f64 v[10:11], v[10:11], v[12:13]
	v_fma_f64 v[12:13], v[199:200], s[6:7], v[29:30]
	v_add_f64 v[14:15], v[140:141], v[14:15]
	v_mul_f64 v[29:30], v[237:238], s[30:31]
	v_fma_f64 v[52:53], v[182:183], s[14:15], -v[33:34]
	v_add_f64 v[50:51], v[6:7], v[10:11]
	v_fma_f64 v[10:11], v[211:212], s[14:15], v[25:26]
	v_add_f64 v[12:13], v[12:13], v[14:15]
	v_fma_f64 v[25:26], v[193:194], s[14:15], v[23:24]
	v_fma_f64 v[6:7], v[219:220], s[16:17], v[8:9]
	;; [unrolled: 1-line block ×3, first 2 shown]
	v_mul_f64 v[14:15], v[0:1], s[20:21]
	v_fma_f64 v[31:32], v[199:200], s[16:17], -v[29:30]
	v_add_f64 v[52:53], v[140:141], v[52:53]
	v_mul_f64 v[0:1], v[0:1], s[24:25]
	v_add_f64 v[10:11], v[10:11], v[12:13]
	v_add_f64 v[25:26], v[142:143], v[25:26]
	v_fma_f64 v[16:17], v[213:214], s[6:7], v[14:15]
	v_add_f64 v[31:32], v[31:32], v[52:53]
	v_add_f64 v[8:9], v[8:9], v[10:11]
	v_mul_f64 v[10:11], v[2:3], s[34:35]
	v_add_f64 v[21:22], v[21:22], v[25:26]
	v_mul_f64 v[25:26], v[239:240], s[20:21]
	v_mul_f64 v[2:3], v[2:3], s[20:21]
	v_add_f64 v[48:49], v[6:7], v[8:9]
	v_mul_f64 v[6:7], v[4:5], s[24:25]
	v_fma_f64 v[12:13], v[223:224], s[18:19], v[10:11]
	v_add_f64 v[16:17], v[16:17], v[21:22]
	v_fma_f64 v[27:28], v[211:212], s[6:7], -v[25:26]
	v_fma_f64 v[10:11], v[223:224], s[18:19], -v[10:11]
	v_mul_f64 v[4:5], v[4:5], s[26:27]
	v_fma_f64 v[8:9], v[235:236], s[12:13], v[6:7]
	v_fma_f64 v[6:7], v[235:236], s[12:13], -v[6:7]
	v_add_f64 v[12:13], v[12:13], v[16:17]
	v_mul_f64 v[16:17], v[241:242], s[34:35]
	v_add_f64 v[27:28], v[27:28], v[31:32]
	v_add_f64 v[54:55], v[8:9], v[12:13]
	v_mul_f64 v[8:9], v[245:246], s[24:25]
	v_fma_f64 v[21:22], v[249:250], s[18:19], -v[16:17]
	v_fma_f64 v[12:13], v[219:220], s[12:13], -v[8:9]
	v_add_f64 v[21:22], v[21:22], v[27:28]
	v_mul_f64 v[27:28], v[60:61], s[22:23]
	v_add_f64 v[52:53], v[12:13], v[21:22]
	v_fma_f64 v[12:13], v[213:214], s[6:7], -v[14:15]
	v_fma_f64 v[14:15], v[217:218], s[16:17], -v[19:20]
	v_fma_f64 v[19:20], v[193:194], s[14:15], -v[23:24]
	v_mul_f64 v[23:24], v[237:238], s[28:29]
	v_add_f64 v[19:20], v[142:143], v[19:20]
	v_add_f64 v[14:15], v[14:15], v[19:20]
	;; [unrolled: 1-line block ×3, first 2 shown]
	v_fma_f64 v[14:15], v[182:183], s[14:15], v[33:34]
	v_add_f64 v[10:11], v[10:11], v[12:13]
	v_fma_f64 v[12:13], v[199:200], s[16:17], v[29:30]
	v_add_f64 v[14:15], v[140:141], v[14:15]
	v_fma_f64 v[29:30], v[182:183], s[16:17], -v[27:28]
	v_add_f64 v[58:59], v[6:7], v[10:11]
	v_fma_f64 v[6:7], v[219:220], s[12:13], v[8:9]
	v_fma_f64 v[8:9], v[249:250], s[18:19], v[16:17]
	;; [unrolled: 1-line block ×3, first 2 shown]
	v_add_f64 v[12:13], v[12:13], v[14:15]
	v_mul_f64 v[16:17], v[62:63], s[22:23]
	v_fma_f64 v[25:26], v[199:200], s[18:19], -v[23:24]
	v_add_f64 v[29:30], v[140:141], v[29:30]
	v_add_f64 v[10:11], v[10:11], v[12:13]
	v_mul_f64 v[12:13], v[243:244], s[28:29]
	v_fma_f64 v[19:20], v[193:194], s[16:17], v[16:17]
	v_add_f64 v[25:26], v[25:26], v[29:30]
	v_add_f64 v[8:9], v[8:9], v[10:11]
	v_fma_f64 v[14:15], v[217:218], s[18:19], v[12:13]
	v_add_f64 v[19:20], v[142:143], v[19:20]
	v_fma_f64 v[10:11], v[213:214], s[12:13], v[0:1]
	v_fma_f64 v[0:1], v[213:214], s[12:13], -v[0:1]
	v_add_f64 v[56:57], v[6:7], v[8:9]
	v_fma_f64 v[8:9], v[223:224], s[6:7], v[2:3]
	v_add_f64 v[14:15], v[14:15], v[19:20]
	v_mul_f64 v[19:20], v[239:240], s[24:25]
	v_fma_f64 v[6:7], v[235:236], s[14:15], v[4:5]
	v_fma_f64 v[2:3], v[223:224], s[6:7], -v[2:3]
	v_fma_f64 v[4:5], v[235:236], s[14:15], -v[4:5]
	v_add_f64 v[10:11], v[10:11], v[14:15]
	v_fma_f64 v[21:22], v[211:212], s[12:13], -v[19:20]
	v_add_f64 v[8:9], v[8:9], v[10:11]
	v_mul_f64 v[10:11], v[241:242], s[20:21]
	v_add_f64 v[21:22], v[21:22], v[25:26]
	v_add_f64 v[62:63], v[6:7], v[8:9]
	v_mul_f64 v[6:7], v[245:246], s[26:27]
	v_fma_f64 v[14:15], v[249:250], s[6:7], -v[10:11]
	v_fma_f64 v[8:9], v[219:220], s[14:15], -v[6:7]
	v_add_f64 v[14:15], v[14:15], v[21:22]
	v_add_f64 v[60:61], v[8:9], v[14:15]
	v_fma_f64 v[8:9], v[217:218], s[18:19], -v[12:13]
	v_fma_f64 v[12:13], v[193:194], s[16:17], -v[16:17]
	v_add_f64 v[12:13], v[142:143], v[12:13]
	v_add_f64 v[8:9], v[8:9], v[12:13]
	buffer_load_dword v12, off, s[48:51], 0 offset:292 ; 4-byte Folded Reload
	buffer_load_dword v13, off, s[48:51], 0 offset:296 ; 4-byte Folded Reload
	v_add_f64 v[0:1], v[0:1], v[8:9]
	v_fma_f64 v[8:9], v[199:200], s[18:19], v[23:24]
	v_add_f64 v[0:1], v[2:3], v[0:1]
	v_add_f64 v[2:3], v[4:5], v[0:1]
	v_fma_f64 v[4:5], v[249:250], s[6:7], v[10:11]
	v_fma_f64 v[10:11], v[182:183], s[16:17], v[27:28]
	;; [unrolled: 1-line block ×4, first 2 shown]
	v_add_f64 v[10:11], v[140:141], v[10:11]
	v_add_f64 v[8:9], v[8:9], v[10:11]
	v_add_f64 v[10:11], v[203:204], -v[233:234]
	v_add_f64 v[6:7], v[6:7], v[8:9]
	v_add_f64 v[8:9], v[225:226], -v[231:232]
	;; [unrolled: 2-line block ×4, first 2 shown]
	s_waitcnt vmcnt(0)
	v_add_f64 v[12:13], v[180:181], -v[12:13]
	v_add_f64 v[12:13], v[142:143], v[12:13]
	v_add_f64 v[10:11], v[10:11], v[12:13]
	;; [unrolled: 1-line block ×3, first 2 shown]
	buffer_load_dword v10, off, s[48:51], 0 offset:284 ; 4-byte Folded Reload
	buffer_load_dword v11, off, s[48:51], 0 offset:288 ; 4-byte Folded Reload
	;; [unrolled: 1-line block ×6, first 2 shown]
	v_add_f64 v[6:7], v[6:7], v[8:9]
	v_add_f64 v[8:9], v[247:248], v[205:206]
	;; [unrolled: 1-line block ×4, first 2 shown]
	s_waitcnt vmcnt(4)
	v_add_f64 v[10:11], v[10:11], v[195:196]
	s_waitcnt vmcnt(2)
	v_add_f64 v[12:13], v[12:13], v[164:165]
	s_waitcnt vmcnt(0)
	v_add_f64 v[14:15], v[14:15], v[178:179]
	v_add_f64 v[14:15], v[140:141], v[14:15]
	v_add_f64 v[12:13], v[12:13], v[14:15]
	;; [unrolled: 1-line block ×5, first 2 shown]
	buffer_load_dword v8, off, s[48:51], 0 offset:276 ; 4-byte Folded Reload
	buffer_load_dword v9, off, s[48:51], 0 offset:280 ; 4-byte Folded Reload
	;; [unrolled: 1-line block ×10, first 2 shown]
	s_waitcnt vmcnt(8)
	v_add_f64 v[8:9], v[209:210], -v[8:9]
	s_waitcnt vmcnt(6)
	v_add_f64 v[10:11], v[201:202], -v[10:11]
	;; [unrolled: 2-line block ×5, first 2 shown]
	v_add_f64 v[16:17], v[142:143], v[16:17]
	v_add_f64 v[14:15], v[14:15], v[16:17]
	;; [unrolled: 1-line block ×5, first 2 shown]
	buffer_load_dword v8, off, s[48:51], 0 offset:236 ; 4-byte Folded Reload
	buffer_load_dword v9, off, s[48:51], 0 offset:240 ; 4-byte Folded Reload
	;; [unrolled: 1-line block ×10, first 2 shown]
	s_waitcnt vmcnt(8)
	v_add_f64 v[8:9], v[8:9], v[207:208]
	s_waitcnt vmcnt(6)
	v_add_f64 v[12:13], v[12:13], v[197:198]
	;; [unrolled: 2-line block ×5, first 2 shown]
	v_add_f64 v[19:20], v[140:141], v[19:20]
	v_add_f64 v[16:17], v[16:17], v[19:20]
	;; [unrolled: 1-line block ×3, first 2 shown]
	buffer_load_dword v16, off, s[48:51], 0 offset:152 ; 4-byte Folded Reload
	buffer_load_dword v17, off, s[48:51], 0 offset:156 ; 4-byte Folded Reload
	v_add_f64 v[12:13], v[12:13], v[14:15]
	v_add_f64 v[8:9], v[8:9], v[12:13]
	;; [unrolled: 1-line block ×11, first 2 shown]
	s_waitcnt vmcnt(0)
	v_add_lshl_u32 v16, v17, v16, 4
	v_add_f64 v[14:15], v[12:13], v[154:155]
	v_add_f64 v[12:13], v[140:141], v[187:188]
	;; [unrolled: 1-line block ×11, first 2 shown]
	ds_write_b128 v16, v[12:15]
	ds_write_b128 v16, v[8:11] offset:48
	ds_write_b128 v16, v[4:7] offset:96
	;; [unrolled: 1-line block ×10, first 2 shown]
.LBB0_13:
	s_or_b64 exec, exec, s[4:5]
	s_waitcnt lgkmcnt(0)
	s_barrier
	ds_read_b128 v[0:3], v18 offset:5808
	ds_read_b128 v[4:7], v18
	ds_read_b128 v[8:11], v18 offset:1936
	ds_read_b128 v[12:15], v18 offset:11616
	;; [unrolled: 1-line block ×4, first 2 shown]
	s_waitcnt lgkmcnt(5)
	v_mul_f64 v[16:17], v[82:83], v[2:3]
	v_mul_f64 v[31:32], v[82:83], v[0:1]
	s_waitcnt lgkmcnt(2)
	v_mul_f64 v[52:53], v[78:79], v[12:13]
	ds_read_b128 v[27:30], v18 offset:7744
	ds_read_b128 v[44:47], v18 offset:9680
	v_mul_f64 v[33:34], v[78:79], v[14:15]
	ds_read_b128 v[48:51], v18 offset:15488
	s_mov_b32 s4, 0xe8584caa
	s_waitcnt lgkmcnt(2)
	v_mul_f64 v[54:55], v[98:99], v[29:30]
	v_fma_f64 v[0:1], v[80:81], v[0:1], v[16:17]
	v_fma_f64 v[2:3], v[80:81], v[2:3], -v[31:32]
	v_mul_f64 v[16:17], v[86:87], v[21:22]
	v_fma_f64 v[14:15], v[76:77], v[14:15], -v[52:53]
	v_mul_f64 v[31:32], v[86:87], v[19:20]
	s_waitcnt lgkmcnt(1)
	v_mul_f64 v[52:53], v[106:107], v[44:45]
	v_mul_f64 v[56:57], v[98:99], v[27:28]
	v_fma_f64 v[12:13], v[76:77], v[12:13], v[33:34]
	v_fma_f64 v[27:28], v[96:97], v[27:28], v[54:55]
	v_mul_f64 v[33:34], v[106:107], v[46:47]
	v_fma_f64 v[16:17], v[84:85], v[19:20], v[16:17]
	s_waitcnt lgkmcnt(0)
	v_mul_f64 v[19:20], v[94:95], v[50:51]
	v_fma_f64 v[21:22], v[84:85], v[21:22], -v[31:32]
	v_mul_f64 v[31:32], v[94:95], v[48:49]
	v_fma_f64 v[58:59], v[104:105], v[46:47], -v[52:53]
	v_add_f64 v[52:53], v[2:3], v[14:15]
	v_fma_f64 v[29:30], v[96:97], v[29:30], -v[56:57]
	v_add_f64 v[54:55], v[0:1], v[12:13]
	v_add_f64 v[56:57], v[4:5], v[0:1]
	v_fma_f64 v[33:34], v[104:105], v[44:45], v[33:34]
	v_add_f64 v[46:47], v[2:3], -v[14:15]
	v_fma_f64 v[19:20], v[92:93], v[48:49], v[19:20]
	v_fma_f64 v[31:32], v[92:93], v[50:51], -v[31:32]
	v_add_f64 v[50:51], v[27:28], v[16:17]
	v_add_f64 v[2:3], v[6:7], v[2:3]
	v_fma_f64 v[6:7], v[52:53], -0.5, v[6:7]
	v_add_f64 v[0:1], v[0:1], -v[12:13]
	s_mov_b32 s5, 0xbfebb67a
	s_mov_b32 s7, 0x3febb67a
	;; [unrolled: 1-line block ×3, first 2 shown]
	v_fma_f64 v[4:5], v[54:55], -0.5, v[4:5]
	v_add_f64 v[44:45], v[56:57], v[12:13]
	v_add_f64 v[12:13], v[8:9], v[27:28]
	v_fma_f64 v[8:9], v[50:51], -0.5, v[8:9]
	v_fma_f64 v[50:51], v[0:1], s[6:7], v[6:7]
	v_fma_f64 v[54:55], v[0:1], s[4:5], v[6:7]
	v_add_f64 v[0:1], v[33:34], v[19:20]
	s_barrier
	v_add_f64 v[56:57], v[12:13], v[16:17]
	v_add_f64 v[12:13], v[58:59], -v[31:32]
	v_fma_f64 v[48:49], v[46:47], s[4:5], v[4:5]
	v_add_f64 v[62:63], v[29:30], -v[21:22]
	v_fma_f64 v[0:1], v[0:1], -0.5, v[23:24]
	v_fma_f64 v[52:53], v[46:47], s[6:7], v[4:5]
	v_add_f64 v[46:47], v[2:3], v[14:15]
	v_add_f64 v[2:3], v[29:30], v[21:22]
	;; [unrolled: 1-line block ×5, first 2 shown]
	v_fma_f64 v[60:61], v[62:63], s[4:5], v[8:9]
	v_fma_f64 v[72:73], v[12:13], s[4:5], v[0:1]
	;; [unrolled: 1-line block ×3, first 2 shown]
	buffer_load_dword v0, off, s[48:51], 0 offset:208 ; 4-byte Folded Reload
	v_fma_f64 v[64:65], v[62:63], s[6:7], v[8:9]
	v_fma_f64 v[2:3], v[2:3], -0.5, v[10:11]
	v_add_f64 v[8:9], v[27:28], -v[16:17]
	v_add_f64 v[58:59], v[6:7], v[21:22]
	v_add_f64 v[10:11], v[23:24], v[33:34]
	v_fma_f64 v[4:5], v[4:5], -0.5, v[25:26]
	v_add_f64 v[16:17], v[33:34], -v[19:20]
	v_add_f64 v[78:79], v[14:15], v[31:32]
	v_fma_f64 v[62:63], v[8:9], s[6:7], v[2:3]
	v_fma_f64 v[66:67], v[8:9], s[4:5], v[2:3]
	v_add_f64 v[76:77], v[10:11], v[19:20]
	s_waitcnt vmcnt(0)
	ds_write_b128 v0, v[44:47]
	ds_write_b128 v0, v[48:51] offset:528
	ds_write_b128 v0, v[52:55] offset:1056
	ds_write_b128 v184, v[56:59]
	ds_write_b128 v184, v[60:63] offset:528
	ds_write_b128 v184, v[64:67] offset:1056
	buffer_load_dword v0, off, s[48:51], 0 offset:184 ; 4-byte Folded Reload
	v_fma_f64 v[74:75], v[16:17], s[6:7], v[4:5]
	v_fma_f64 v[70:71], v[16:17], s[4:5], v[4:5]
	s_waitcnt vmcnt(0)
	ds_write_b128 v0, v[76:79]
	ds_write_b128 v0, v[72:75] offset:528
	ds_write_b128 v0, v[68:71] offset:1056
	s_waitcnt lgkmcnt(0)
	s_barrier
	s_and_saveexec_b64 s[4:5], s[0:1]
	s_cbranch_execz .LBB0_15
; %bb.14:
	ds_read_b128 v[44:47], v18
	ds_read_b128 v[48:51], v18 offset:1584
	ds_read_b128 v[52:55], v18 offset:3168
	;; [unrolled: 1-line block ×10, first 2 shown]
.LBB0_15:
	s_or_b64 exec, exec, s[4:5]
	s_and_saveexec_b64 s[4:5], s[0:1]
	s_cbranch_execz .LBB0_17
; %bb.16:
	s_waitcnt lgkmcnt(5)
	v_mul_f64 v[0:1], v[134:135], v[66:67]
	s_waitcnt lgkmcnt(4)
	v_mul_f64 v[2:3], v[126:127], v[78:79]
	v_mul_f64 v[8:9], v[126:127], v[76:77]
	;; [unrolled: 1-line block ×4, first 2 shown]
	s_waitcnt lgkmcnt(0)
	v_mul_f64 v[19:20], v[130:131], v[42:43]
	v_mul_f64 v[23:24], v[102:103], v[48:49]
	;; [unrolled: 1-line block ×3, first 2 shown]
	v_fma_f64 v[6:7], v[132:133], v[64:65], v[0:1]
	v_fma_f64 v[0:1], v[124:125], v[76:77], v[2:3]
	v_mul_f64 v[2:3], v[114:115], v[60:61]
	v_fma_f64 v[76:77], v[112:113], v[60:61], v[10:11]
	v_fma_f64 v[60:61], v[124:125], v[78:79], -v[8:9]
	v_mul_f64 v[8:9], v[110:111], v[58:59]
	v_mul_f64 v[10:11], v[118:119], v[70:71]
	v_fma_f64 v[16:17], v[100:101], v[48:49], v[16:17]
	v_fma_f64 v[40:41], v[128:129], v[40:41], v[19:20]
	v_fma_f64 v[27:28], v[100:101], v[50:51], -v[23:24]
	v_fma_f64 v[78:79], v[112:113], v[62:63], -v[2:3]
	;; [unrolled: 1-line block ×3, first 2 shown]
	s_mov_b32 s20, 0xfd768dbf
	v_fma_f64 v[80:81], v[108:109], v[56:57], v[8:9]
	v_fma_f64 v[62:63], v[116:117], v[68:69], v[10:11]
	v_mul_f64 v[8:9], v[110:111], v[56:57]
	v_mul_f64 v[10:11], v[118:119], v[68:69]
	v_add_f64 v[33:34], v[16:17], -v[40:41]
	s_mov_b32 s21, 0xbfd207e7
	v_mul_f64 v[4:5], v[134:135], v[64:65]
	v_mul_f64 v[12:13], v[122:123], v[74:75]
	;; [unrolled: 1-line block ×3, first 2 shown]
	s_mov_b32 s26, 0xf8bb580b
	v_fma_f64 v[68:69], v[108:109], v[58:59], -v[8:9]
	v_fma_f64 v[58:59], v[116:117], v[70:71], -v[10:11]
	v_mul_f64 v[8:9], v[90:91], v[54:55]
	v_mul_f64 v[10:11], v[138:139], v[38:39]
	s_mov_b32 s27, 0x3fe14ced
	v_fma_f64 v[64:65], v[132:133], v[66:67], -v[4:5]
	v_fma_f64 v[4:5], v[120:121], v[72:73], v[12:13]
	v_fma_f64 v[66:67], v[120:121], v[74:75], -v[14:15]
	v_add_f64 v[84:85], v[80:81], -v[62:63]
	v_add_f64 v[94:95], v[68:69], -v[58:59]
	v_fma_f64 v[86:87], v[88:89], v[52:53], v[8:9]
	v_fma_f64 v[70:71], v[136:137], v[36:37], v[10:11]
	v_mul_f64 v[8:9], v[90:91], v[52:53]
	v_mul_f64 v[10:11], v[138:139], v[36:37]
	v_add_f64 v[52:53], v[27:28], -v[42:43]
	v_add_f64 v[90:91], v[16:17], v[40:41]
	s_mov_b32 s14, 0xbb3a28a1
	s_mov_b32 s22, 0x8764f0ba
	;; [unrolled: 1-line block ×3, first 2 shown]
	v_add_f64 v[31:32], v[86:87], -v[70:71]
	v_fma_f64 v[50:51], v[88:89], v[54:55], -v[8:9]
	v_fma_f64 v[48:49], v[136:137], v[38:39], -v[10:11]
	v_mul_f64 v[8:9], v[33:34], s[20:21]
	v_add_f64 v[54:55], v[27:28], v[42:43]
	v_mul_f64 v[19:20], v[52:53], s[20:21]
	v_add_f64 v[96:97], v[86:87], v[70:71]
	s_mov_b32 s23, 0x3feaeb8c
	v_mul_f64 v[10:11], v[31:32], s[26:27]
	v_add_f64 v[74:75], v[76:77], -v[4:5]
	v_add_f64 v[88:89], v[50:51], -v[48:49]
	v_add_f64 v[92:93], v[50:51], v[48:49]
	v_fma_f64 v[23:24], v[54:55], s[18:19], v[8:9]
	v_fma_f64 v[29:30], v[90:91], s[18:19], -v[19:20]
	v_mul_f64 v[21:22], v[84:85], s[14:15]
	v_add_f64 v[82:83], v[68:69], v[58:59]
	v_add_f64 v[98:99], v[78:79], -v[66:67]
	v_add_f64 v[100:101], v[80:81], v[62:63]
	v_mul_f64 v[25:26], v[88:89], s[26:27]
	v_fma_f64 v[36:37], v[92:93], s[22:23], v[10:11]
	v_add_f64 v[23:24], v[46:47], v[23:24]
	v_mul_f64 v[102:103], v[94:95], s[14:15]
	v_add_f64 v[29:30], v[44:45], v[29:30]
	v_fma_f64 v[8:9], v[54:55], s[18:19], -v[8:9]
	s_mov_b32 s16, 0x7f775887
	s_mov_b32 s7, 0x3fed1bb4
	v_fma_f64 v[38:39], v[96:97], s[22:23], -v[25:26]
	s_mov_b32 s6, 0x8eee2c13
	s_mov_b32 s17, 0xbfe4f49e
	v_add_f64 v[72:73], v[6:7], -v[0:1]
	v_mul_f64 v[14:15], v[74:75], s[6:7]
	v_add_f64 v[56:57], v[78:79], v[66:67]
	v_fma_f64 v[104:105], v[82:83], s[16:17], v[21:22]
	v_add_f64 v[23:24], v[36:37], v[23:24]
	v_add_f64 v[106:107], v[64:65], -v[60:61]
	v_add_f64 v[108:109], v[76:77], v[4:5]
	v_mul_f64 v[110:111], v[98:99], s[6:7]
	v_fma_f64 v[36:37], v[100:101], s[16:17], -v[102:103]
	v_add_f64 v[29:30], v[38:39], v[29:30]
	v_fma_f64 v[10:11], v[92:93], s[22:23], -v[10:11]
	v_add_f64 v[8:9], v[46:47], v[8:9]
	s_mov_b32 s0, 0x43842ef
	s_mov_b32 s1, 0xbfefac9e
	v_add_f64 v[2:3], v[64:65], v[60:61]
	v_mul_f64 v[12:13], v[72:73], s[0:1]
	v_fma_f64 v[38:39], v[56:57], s[12:13], v[14:15]
	v_add_f64 v[23:24], v[104:105], v[23:24]
	v_add_f64 v[104:105], v[6:7], v[0:1]
	v_mul_f64 v[112:113], v[106:107], s[0:1]
	v_fma_f64 v[114:115], v[108:109], s[12:13], -v[110:111]
	v_add_f64 v[29:30], v[36:37], v[29:30]
	v_fma_f64 v[21:22], v[82:83], s[16:17], -v[21:22]
	v_add_f64 v[8:9], v[10:11], v[8:9]
	s_mov_b32 s24, 0x640f44db
	s_mov_b32 s25, 0xbfc2375f
	v_fma_f64 v[10:11], v[2:3], s[24:25], v[12:13]
	v_add_f64 v[23:24], v[38:39], v[23:24]
	v_fma_f64 v[36:37], v[104:105], s[24:25], -v[112:113]
	v_add_f64 v[29:30], v[114:115], v[29:30]
	v_fma_f64 v[14:15], v[56:57], s[12:13], -v[14:15]
	v_add_f64 v[8:9], v[21:22], v[8:9]
	v_fma_f64 v[19:20], v[90:91], s[18:19], v[19:20]
	v_mul_f64 v[21:22], v[33:34], s[14:15]
	s_mov_b32 s30, s0
	v_add_f64 v[38:39], v[10:11], v[23:24]
	v_fma_f64 v[23:24], v[108:109], s[12:13], v[110:111]
	v_add_f64 v[36:37], v[36:37], v[29:30]
	v_fma_f64 v[29:30], v[100:101], s[16:17], v[102:103]
	;; [unrolled: 2-line block ×3, first 2 shown]
	v_add_f64 v[19:20], v[44:45], v[19:20]
	v_mul_f64 v[25:26], v[52:53], s[14:15]
	v_mul_f64 v[102:103], v[31:32], s[30:31]
	v_fma_f64 v[110:111], v[54:55], s[16:17], v[21:22]
	s_mov_b32 s29, 0xbfe14ced
	s_mov_b32 s28, s26
	v_fma_f64 v[10:11], v[2:3], s[24:25], -v[12:13]
	v_fma_f64 v[12:13], v[104:105], s[24:25], v[112:113]
	v_add_f64 v[14:15], v[14:15], v[19:20]
	v_mul_f64 v[19:20], v[88:89], s[30:31]
	v_fma_f64 v[112:113], v[90:91], s[16:17], -v[25:26]
	v_mul_f64 v[114:115], v[84:85], s[28:29]
	v_fma_f64 v[116:117], v[92:93], s[24:25], v[102:103]
	v_add_f64 v[110:111], v[46:47], v[110:111]
	v_mul_f64 v[118:119], v[94:95], s[28:29]
	v_fma_f64 v[21:22], v[54:55], s[16:17], -v[21:22]
	v_add_f64 v[14:15], v[29:30], v[14:15]
	v_fma_f64 v[120:121], v[96:97], s[24:25], -v[19:20]
	v_add_f64 v[112:113], v[44:45], v[112:113]
	v_mul_f64 v[29:30], v[74:75], s[20:21]
	v_fma_f64 v[122:123], v[82:83], s[22:23], v[114:115]
	v_add_f64 v[110:111], v[116:117], v[110:111]
	v_mul_f64 v[116:117], v[98:99], s[20:21]
	v_fma_f64 v[124:125], v[100:101], s[22:23], -v[118:119]
	v_fma_f64 v[102:103], v[92:93], s[24:25], -v[102:103]
	v_add_f64 v[21:22], v[46:47], v[21:22]
	v_add_f64 v[112:113], v[120:121], v[112:113]
	v_mul_f64 v[120:121], v[72:73], s[6:7]
	v_fma_f64 v[126:127], v[56:57], s[18:19], v[29:30]
	v_add_f64 v[110:111], v[122:123], v[110:111]
	v_mul_f64 v[122:123], v[106:107], s[6:7]
	v_fma_f64 v[128:129], v[108:109], s[18:19], -v[116:117]
	v_add_f64 v[14:15], v[23:24], v[14:15]
	v_fma_f64 v[23:24], v[82:83], s[22:23], -v[114:115]
	v_add_f64 v[112:113], v[124:125], v[112:113]
	v_add_f64 v[21:22], v[102:103], v[21:22]
	v_fma_f64 v[102:103], v[2:3], s[12:13], v[120:121]
	v_add_f64 v[110:111], v[126:127], v[110:111]
	v_fma_f64 v[25:26], v[90:91], s[16:17], v[25:26]
	v_fma_f64 v[114:115], v[104:105], s[12:13], -v[122:123]
	v_add_f64 v[10:11], v[10:11], v[8:9]
	v_fma_f64 v[29:30], v[56:57], s[18:19], -v[29:30]
	v_add_f64 v[112:113], v[128:129], v[112:113]
	v_add_f64 v[21:22], v[23:24], v[21:22]
	;; [unrolled: 1-line block ×3, first 2 shown]
	v_fma_f64 v[19:20], v[96:97], s[24:25], v[19:20]
	v_add_f64 v[23:24], v[44:45], v[25:26]
	v_add_f64 v[14:15], v[102:103], v[110:111]
	v_mul_f64 v[102:103], v[33:34], s[0:1]
	s_mov_b32 s35, 0x3fd207e7
	s_mov_b32 s34, s20
	v_add_f64 v[12:13], v[114:115], v[112:113]
	v_add_f64 v[21:22], v[29:30], v[21:22]
	v_fma_f64 v[29:30], v[100:101], s[22:23], v[118:119]
	v_mul_f64 v[110:111], v[52:53], s[0:1]
	v_add_f64 v[19:20], v[19:20], v[23:24]
	v_mul_f64 v[23:24], v[31:32], s[34:35]
	v_fma_f64 v[112:113], v[54:55], s[24:25], v[102:103]
	v_fma_f64 v[25:26], v[2:3], s[12:13], -v[120:121]
	v_fma_f64 v[114:115], v[108:109], s[18:19], v[116:117]
	v_mul_f64 v[116:117], v[88:89], s[34:35]
	v_mul_f64 v[124:125], v[94:95], s[6:7]
	v_fma_f64 v[118:119], v[90:91], s[24:25], -v[110:111]
	v_add_f64 v[19:20], v[29:30], v[19:20]
	v_fma_f64 v[29:30], v[54:55], s[24:25], -v[102:103]
	v_mul_f64 v[102:103], v[84:85], s[6:7]
	v_fma_f64 v[120:121], v[92:93], s[18:19], v[23:24]
	v_add_f64 v[112:113], v[46:47], v[112:113]
	v_fma_f64 v[126:127], v[96:97], s[18:19], -v[116:117]
	v_fma_f64 v[23:24], v[92:93], s[18:19], -v[23:24]
	v_add_f64 v[118:119], v[44:45], v[118:119]
	v_mul_f64 v[128:129], v[74:75], s[28:29]
	v_add_f64 v[29:30], v[46:47], v[29:30]
	v_fma_f64 v[130:131], v[82:83], s[12:13], v[102:103]
	v_fma_f64 v[132:133], v[100:101], s[12:13], -v[124:125]
	v_add_f64 v[112:113], v[120:121], v[112:113]
	v_mul_f64 v[120:121], v[98:99], s[28:29]
	v_fma_f64 v[102:103], v[82:83], s[12:13], -v[102:103]
	v_add_f64 v[118:119], v[126:127], v[118:119]
	v_fma_f64 v[126:127], v[56:57], s[22:23], v[128:129]
	v_add_f64 v[23:24], v[23:24], v[29:30]
	v_mul_f64 v[29:30], v[72:73], s[14:15]
	v_fma_f64 v[128:129], v[56:57], s[22:23], -v[128:129]
	v_add_f64 v[112:113], v[130:131], v[112:113]
	v_mul_f64 v[130:131], v[106:107], s[14:15]
	v_fma_f64 v[134:135], v[108:109], s[22:23], -v[120:121]
	v_add_f64 v[118:119], v[132:133], v[118:119]
	v_add_f64 v[19:20], v[114:115], v[19:20]
	;; [unrolled: 1-line block ×3, first 2 shown]
	v_fma_f64 v[102:103], v[104:105], s[12:13], v[122:123]
	v_fma_f64 v[114:115], v[2:3], s[16:17], v[29:30]
	v_add_f64 v[112:113], v[126:127], v[112:113]
	s_mov_b32 s7, 0xbfed1bb4
	v_add_f64 v[27:28], v[46:47], v[27:28]
	v_add_f64 v[16:17], v[44:45], v[16:17]
	v_fma_f64 v[122:123], v[104:105], s[16:17], -v[130:131]
	v_add_f64 v[118:119], v[134:135], v[118:119]
	v_fma_f64 v[29:30], v[2:3], s[16:17], -v[29:30]
	v_add_f64 v[126:127], v[128:129], v[23:24]
	v_add_f64 v[21:22], v[25:26], v[21:22]
	;; [unrolled: 1-line block ×3, first 2 shown]
	v_mul_f64 v[102:103], v[33:34], s[6:7]
	v_fma_f64 v[110:111], v[90:91], s[24:25], v[110:111]
	v_add_f64 v[25:26], v[114:115], v[112:113]
	v_mul_f64 v[112:113], v[52:53], s[6:7]
	v_add_f64 v[27:28], v[27:28], v[50:51]
	v_add_f64 v[16:17], v[16:17], v[86:87]
	;; [unrolled: 1-line block ×4, first 2 shown]
	v_fma_f64 v[114:115], v[96:97], s[18:19], v[116:117]
	v_mul_f64 v[116:117], v[31:32], s[14:15]
	v_fma_f64 v[118:119], v[54:55], s[12:13], v[102:103]
	v_add_f64 v[110:111], v[44:45], v[110:111]
	v_mul_f64 v[126:127], v[88:89], s[14:15]
	v_fma_f64 v[128:129], v[90:91], s[12:13], -v[112:113]
	v_fma_f64 v[102:103], v[54:55], s[12:13], -v[102:103]
	v_add_f64 v[27:28], v[27:28], v[68:69]
	v_add_f64 v[16:17], v[16:17], v[80:81]
	v_fma_f64 v[122:123], v[104:105], s[16:17], v[130:131]
	v_fma_f64 v[124:125], v[100:101], s[12:13], v[124:125]
	v_mul_f64 v[130:131], v[84:85], s[34:35]
	v_fma_f64 v[132:133], v[92:93], s[16:17], v[116:117]
	v_add_f64 v[110:111], v[114:115], v[110:111]
	v_fma_f64 v[134:135], v[96:97], s[16:17], -v[126:127]
	v_add_f64 v[128:129], v[44:45], v[128:129]
	v_fma_f64 v[116:117], v[92:93], s[16:17], -v[116:117]
	v_add_f64 v[102:103], v[46:47], v[102:103]
	v_add_f64 v[27:28], v[27:28], v[78:79]
	;; [unrolled: 1-line block ×3, first 2 shown]
	v_fma_f64 v[114:115], v[108:109], s[22:23], v[120:121]
	v_fma_f64 v[138:139], v[82:83], s[18:19], v[130:131]
	v_add_f64 v[110:111], v[124:125], v[110:111]
	v_add_f64 v[128:129], v[134:135], v[128:129]
	v_mul_f64 v[134:135], v[72:73], s[26:27]
	v_fma_f64 v[130:131], v[82:83], s[18:19], -v[130:131]
	v_fma_f64 v[112:113], v[90:91], s[12:13], v[112:113]
	v_add_f64 v[102:103], v[116:117], v[102:103]
	v_mul_f64 v[33:34], v[33:34], s[28:29]
	v_mul_f64 v[52:53], v[52:53], s[28:29]
	v_add_f64 v[118:119], v[46:47], v[118:119]
	v_mul_f64 v[120:121], v[94:95], s[34:35]
	v_add_f64 v[27:28], v[27:28], v[64:65]
	v_add_f64 v[6:7], v[16:17], v[6:7]
	v_add_f64 v[110:111], v[114:115], v[110:111]
	v_fma_f64 v[114:115], v[2:3], s[22:23], v[134:135]
	v_fma_f64 v[126:127], v[96:97], s[16:17], v[126:127]
	v_add_f64 v[112:113], v[44:45], v[112:113]
	v_add_f64 v[102:103], v[130:131], v[102:103]
	v_fma_f64 v[130:131], v[2:3], s[22:23], -v[134:135]
	v_mul_f64 v[31:32], v[31:32], s[6:7]
	v_fma_f64 v[134:135], v[54:55], s[22:23], v[33:34]
	v_fma_f64 v[33:34], v[54:55], s[22:23], -v[33:34]
	v_mul_f64 v[54:55], v[88:89], s[6:7]
	v_fma_f64 v[16:17], v[90:91], s[22:23], v[52:53]
	v_mul_f64 v[136:137], v[74:75], s[30:31]
	v_add_f64 v[118:119], v[132:133], v[118:119]
	v_fma_f64 v[132:133], v[100:101], s[18:19], -v[120:121]
	v_fma_f64 v[52:53], v[90:91], s[22:23], -v[52:53]
	v_add_f64 v[27:28], v[27:28], v[60:61]
	v_add_f64 v[0:1], v[6:7], v[0:1]
	v_add_f64 v[112:113], v[126:127], v[112:113]
	v_mul_f64 v[84:85], v[84:85], s[0:1]
	v_fma_f64 v[86:87], v[92:93], s[12:13], v[31:32]
	v_add_f64 v[126:127], v[46:47], v[134:135]
	v_mul_f64 v[64:65], v[94:95], s[0:1]
	v_fma_f64 v[31:32], v[92:93], s[12:13], -v[31:32]
	v_add_f64 v[33:34], v[46:47], v[33:34]
	v_fma_f64 v[46:47], v[96:97], s[12:13], v[54:55]
	v_add_f64 v[6:7], v[44:45], v[16:17]
	v_mul_f64 v[124:125], v[98:99], s[30:31]
	v_add_f64 v[128:129], v[132:133], v[128:129]
	v_fma_f64 v[132:133], v[56:57], s[24:25], -v[136:137]
	v_fma_f64 v[120:121], v[100:101], s[18:19], v[120:121]
	v_fma_f64 v[16:17], v[96:97], s[12:13], -v[54:55]
	v_add_f64 v[44:45], v[44:45], v[52:53]
	v_add_f64 v[27:28], v[27:28], v[66:67]
	;; [unrolled: 1-line block ×3, first 2 shown]
	v_mul_f64 v[74:75], v[74:75], s[14:15]
	v_mul_f64 v[78:79], v[98:99], s[14:15]
	v_fma_f64 v[52:53], v[82:83], s[24:25], -v[84:85]
	v_add_f64 v[31:32], v[31:32], v[33:34]
	v_fma_f64 v[33:34], v[100:101], s[24:25], v[64:65]
	v_add_f64 v[4:5], v[46:47], v[6:7]
	v_fma_f64 v[142:143], v[108:109], s[24:25], -v[124:125]
	v_add_f64 v[102:103], v[132:133], v[102:103]
	v_fma_f64 v[124:125], v[108:109], s[24:25], v[124:125]
	v_add_f64 v[112:113], v[120:121], v[112:113]
	v_fma_f64 v[68:69], v[82:83], s[24:25], v[84:85]
	v_add_f64 v[80:81], v[86:87], v[126:127]
	v_fma_f64 v[6:7], v[100:101], s[24:25], -v[64:65]
	v_add_f64 v[16:17], v[16:17], v[44:45]
	v_add_f64 v[27:28], v[27:28], v[58:59]
	;; [unrolled: 1-line block ×3, first 2 shown]
	v_mul_f64 v[72:73], v[72:73], s[20:21]
	v_mul_f64 v[76:77], v[106:107], s[20:21]
	v_fma_f64 v[44:45], v[56:57], s[16:17], -v[74:75]
	v_add_f64 v[31:32], v[52:53], v[31:32]
	v_fma_f64 v[46:47], v[108:109], s[16:17], v[78:79]
	v_add_f64 v[4:5], v[33:34], v[4:5]
	v_add_f64 v[118:119], v[138:139], v[118:119]
	v_mul_f64 v[138:139], v[106:107], s[26:27]
	v_fma_f64 v[140:141], v[56:57], s[24:25], v[136:137]
	v_add_f64 v[50:51], v[130:131], v[102:103]
	v_add_f64 v[102:103], v[124:125], v[112:113]
	v_fma_f64 v[112:113], v[56:57], s[16:17], v[74:75]
	v_add_f64 v[68:69], v[68:69], v[80:81]
	v_fma_f64 v[33:34], v[108:109], s[16:17], -v[78:79]
	v_add_f64 v[6:7], v[6:7], v[16:17]
	v_add_f64 v[27:28], v[27:28], v[48:49]
	;; [unrolled: 1-line block ×3, first 2 shown]
	v_fma_f64 v[16:17], v[2:3], s[18:19], -v[72:73]
	v_add_f64 v[31:32], v[44:45], v[31:32]
	v_fma_f64 v[44:45], v[104:105], s[18:19], v[76:77]
	v_add_f64 v[46:47], v[46:47], v[4:5]
	v_fma_f64 v[86:87], v[104:105], s[22:23], v[138:139]
	v_add_f64 v[116:117], v[140:141], v[118:119]
	v_fma_f64 v[118:119], v[104:105], s[22:23], -v[138:139]
	v_add_f64 v[128:129], v[142:143], v[128:129]
	v_fma_f64 v[52:53], v[2:3], s[18:19], v[72:73]
	v_add_f64 v[54:55], v[112:113], v[68:69]
	v_fma_f64 v[56:57], v[104:105], s[18:19], -v[76:77]
	v_add_f64 v[33:34], v[33:34], v[6:7]
	v_add_f64 v[6:7], v[27:28], v[42:43]
	;; [unrolled: 1-line block ×11, first 2 shown]
	ds_write_b128 v18, v[4:7]
	ds_write_b128 v18, v[0:3] offset:1584
	ds_write_b128 v18, v[48:51] offset:3168
	;; [unrolled: 1-line block ×10, first 2 shown]
.LBB0_17:
	s_or_b64 exec, exec, s[4:5]
	buffer_load_dword v0, off, s[48:51], 0  ; 4-byte Folded Reload
	buffer_load_dword v1, off, s[48:51], 0 offset:4 ; 4-byte Folded Reload
	s_waitcnt vmcnt(0) lgkmcnt(0)
	s_barrier
	v_mad_u64_u32 v[16:17], s[0:1], s8, v255, 0
	v_mov_b32_e32 v25, s3
	s_mul_hi_u32 s3, s8, 0x16b0
	ds_read_b128 v[4:7], v18 offset:1936
	v_mov_b32_e32 v11, v0
	ds_read_b128 v[0:3], v18
	buffer_load_dword v19, off, s[48:51], 0 offset:136 ; 4-byte Folded Reload
	buffer_load_dword v20, off, s[48:51], 0 offset:140 ; 4-byte Folded Reload
	;; [unrolled: 1-line block ×4, first 2 shown]
	v_mad_u64_u32 v[12:13], s[0:1], s10, v11, 0
	v_mov_b32_e32 v8, v13
	s_waitcnt vmcnt(0) lgkmcnt(0)
	v_mul_f64 v[9:10], v[21:22], v[2:3]
	v_mad_u64_u32 v[13:14], s[0:1], s11, v11, v[8:9]
	v_mul_f64 v[14:15], v[21:22], v[0:1]
	v_mov_b32_e32 v8, v17
	v_fma_f64 v[0:1], v[19:20], v[0:1], v[9:10]
	s_mov_b32 s0, 0xa3611655
	s_mov_b32 s1, 0x3f4e1709
	v_fma_f64 v[2:3], v[19:20], v[2:3], -v[14:15]
	v_mad_u64_u32 v[14:15], s[4:5], s9, v255, v[8:9]
	ds_read_b128 v[8:11], v18 offset:5808
	v_lshlrev_b64 v[19:20], 4, v[12:13]
	v_mov_b32_e32 v17, v14
	ds_read_b128 v[12:15], v18 offset:3872
	buffer_load_dword v27, off, s[48:51], 0 offset:104 ; 4-byte Folded Reload
	buffer_load_dword v28, off, s[48:51], 0 offset:108 ; 4-byte Folded Reload
	;; [unrolled: 1-line block ×4, first 2 shown]
	v_mul_f64 v[0:1], v[0:1], s[0:1]
	v_mul_f64 v[2:3], v[2:3], s[0:1]
	v_add_co_u32_e32 v26, vcc, s2, v19
	v_addc_co_u32_e32 v25, vcc, v25, v20, vcc
	v_lshlrev_b64 v[16:17], 4, v[16:17]
	s_mul_i32 s2, s9, 0x16b0
	v_add_co_u32_e32 v16, vcc, v26, v16
	v_addc_co_u32_e32 v17, vcc, v25, v17, vcc
	global_store_dwordx4 v[16:17], v[0:3], off
	s_add_i32 s4, s3, s2
	s_mul_i32 s5, s8, 0x16b0
	v_add_co_u32_e32 v16, vcc, s5, v16
	s_waitcnt vmcnt(1) lgkmcnt(1)
	v_mul_f64 v[21:22], v[29:30], v[10:11]
	v_mul_f64 v[23:24], v[29:30], v[8:9]
	v_mov_b32_e32 v29, s4
	v_addc_co_u32_e32 v17, vcc, v17, v29, vcc
	v_fma_f64 v[19:20], v[27:28], v[8:9], v[21:22]
	v_fma_f64 v[23:24], v[27:28], v[10:11], -v[23:24]
	ds_read_b128 v[8:11], v18 offset:11616
	v_mul_f64 v[0:1], v[19:20], s[0:1]
	ds_read_b128 v[19:22], v18 offset:13552
	buffer_load_dword v30, off, s[48:51], 0 offset:8 ; 4-byte Folded Reload
	buffer_load_dword v31, off, s[48:51], 0 offset:12 ; 4-byte Folded Reload
	;; [unrolled: 1-line block ×4, first 2 shown]
	v_mul_f64 v[2:3], v[23:24], s[0:1]
	s_waitcnt vmcnt(0) lgkmcnt(1)
	v_mul_f64 v[25:26], v[32:33], v[10:11]
	v_mul_f64 v[27:28], v[32:33], v[8:9]
	v_fma_f64 v[8:9], v[30:31], v[8:9], v[25:26]
	v_fma_f64 v[10:11], v[30:31], v[10:11], -v[27:28]
	buffer_load_dword v30, off, s[48:51], 0 offset:40 ; 4-byte Folded Reload
	buffer_load_dword v31, off, s[48:51], 0 offset:44 ; 4-byte Folded Reload
	;; [unrolled: 1-line block ×4, first 2 shown]
	s_waitcnt vmcnt(0)
	v_mul_f64 v[23:24], v[32:33], v[6:7]
	v_mul_f64 v[25:26], v[32:33], v[4:5]
	global_store_dwordx4 v[16:17], v[0:3], off
	v_add_co_u32_e32 v16, vcc, s5, v16
	v_mul_f64 v[0:1], v[8:9], s[0:1]
	v_mov_b32_e32 v8, s4
	v_mul_f64 v[2:3], v[10:11], s[0:1]
	v_fma_f64 v[23:24], v[30:31], v[4:5], v[23:24]
	v_fma_f64 v[25:26], v[30:31], v[6:7], -v[25:26]
	ds_read_b128 v[4:7], v18 offset:7744
	v_addc_co_u32_e32 v17, vcc, v17, v8, vcc
	ds_read_b128 v[8:11], v18 offset:9680
	buffer_load_dword v32, off, s[48:51], 0 offset:24 ; 4-byte Folded Reload
	buffer_load_dword v33, off, s[48:51], 0 offset:28 ; 4-byte Folded Reload
	;; [unrolled: 1-line block ×4, first 2 shown]
	v_mov_b32_e32 v31, 0xffffda30
	global_store_dwordx4 v[16:17], v[0:3], off
	v_mad_u64_u32 v[16:17], s[2:3], s8, v31, v[16:17]
	v_mul_f64 v[0:1], v[23:24], s[0:1]
	v_mul_f64 v[2:3], v[25:26], s[0:1]
	s_mul_i32 s2, s9, 0xffffda30
	s_sub_i32 s6, s2, s8
	v_add_u32_e32 v17, s6, v17
	s_waitcnt vmcnt(1) lgkmcnt(1)
	v_mul_f64 v[27:28], v[34:35], v[6:7]
	v_mul_f64 v[29:30], v[34:35], v[4:5]
	v_fma_f64 v[4:5], v[32:33], v[4:5], v[27:28]
	v_fma_f64 v[6:7], v[32:33], v[6:7], -v[29:30]
	buffer_load_dword v32, off, s[48:51], 0 offset:88 ; 4-byte Folded Reload
	buffer_load_dword v33, off, s[48:51], 0 offset:92 ; 4-byte Folded Reload
	;; [unrolled: 1-line block ×4, first 2 shown]
	v_mov_b32_e32 v27, s4
	global_store_dwordx4 v[16:17], v[0:3], off
	v_add_co_u32_e32 v16, vcc, s5, v16
	v_addc_co_u32_e32 v17, vcc, v17, v27, vcc
	v_mul_f64 v[0:1], v[4:5], s[0:1]
	v_mul_f64 v[2:3], v[6:7], s[0:1]
	s_waitcnt vmcnt(1)
	v_mul_f64 v[23:24], v[34:35], v[21:22]
	v_mul_f64 v[25:26], v[34:35], v[19:20]
	v_fma_f64 v[4:5], v[32:33], v[19:20], v[23:24]
	v_fma_f64 v[6:7], v[32:33], v[21:22], -v[25:26]
	buffer_load_dword v32, off, s[48:51], 0 offset:72 ; 4-byte Folded Reload
	buffer_load_dword v33, off, s[48:51], 0 offset:76 ; 4-byte Folded Reload
	;; [unrolled: 1-line block ×4, first 2 shown]
	v_mov_b32_e32 v23, s4
	global_store_dwordx4 v[16:17], v[0:3], off
	buffer_load_dword v27, off, s[48:51], 0 offset:56 ; 4-byte Folded Reload
	buffer_load_dword v28, off, s[48:51], 0 offset:60 ; 4-byte Folded Reload
	;; [unrolled: 1-line block ×4, first 2 shown]
	v_add_co_u32_e32 v16, vcc, s5, v16
	v_mul_f64 v[0:1], v[4:5], s[0:1]
	v_mul_f64 v[2:3], v[6:7], s[0:1]
	ds_read_b128 v[4:7], v18 offset:15488
	v_addc_co_u32_e32 v17, vcc, v17, v23, vcc
	s_waitcnt vmcnt(5)
	v_mul_f64 v[19:20], v[34:35], v[14:15]
	v_mul_f64 v[21:22], v[34:35], v[12:13]
	v_fma_f64 v[12:13], v[32:33], v[12:13], v[19:20]
	v_fma_f64 v[14:15], v[32:33], v[14:15], -v[21:22]
	buffer_load_dword v32, off, s[48:51], 0 offset:120 ; 4-byte Folded Reload
	buffer_load_dword v33, off, s[48:51], 0 offset:124 ; 4-byte Folded Reload
	;; [unrolled: 1-line block ×4, first 2 shown]
	s_waitcnt vmcnt(4) lgkmcnt(1)
	v_mul_f64 v[19:20], v[29:30], v[10:11]
	v_mul_f64 v[21:22], v[29:30], v[8:9]
	global_store_dwordx4 v[16:17], v[0:3], off
	v_mul_f64 v[12:13], v[12:13], s[0:1]
	v_mul_f64 v[14:15], v[14:15], s[0:1]
	v_fma_f64 v[8:9], v[27:28], v[8:9], v[19:20]
	v_fma_f64 v[10:11], v[27:28], v[10:11], -v[21:22]
	v_mad_u64_u32 v[18:19], s[2:3], s8, v31, v[16:17]
	v_add_u32_e32 v19, s6, v19
	global_store_dwordx4 v[18:19], v[12:15], off
	v_mul_f64 v[0:1], v[8:9], s[0:1]
	v_mul_f64 v[2:3], v[10:11], s[0:1]
	v_mov_b32_e32 v9, s4
	v_add_co_u32_e32 v8, vcc, s5, v18
	v_addc_co_u32_e32 v9, vcc, v19, v9, vcc
	global_store_dwordx4 v[8:9], v[0:3], off
	s_nop 0
	v_mov_b32_e32 v1, s4
	v_add_co_u32_e32 v0, vcc, s5, v8
	v_addc_co_u32_e32 v1, vcc, v9, v1, vcc
	s_waitcnt vmcnt(3) lgkmcnt(0)
	v_mul_f64 v[23:24], v[34:35], v[6:7]
	v_mul_f64 v[25:26], v[34:35], v[4:5]
	v_fma_f64 v[4:5], v[32:33], v[4:5], v[23:24]
	v_fma_f64 v[6:7], v[32:33], v[6:7], -v[25:26]
	v_mul_f64 v[4:5], v[4:5], s[0:1]
	v_mul_f64 v[6:7], v[6:7], s[0:1]
	global_store_dwordx4 v[0:1], v[4:7], off
.LBB0_18:
	s_endpgm
	.section	.rodata,"a",@progbits
	.p2align	6, 0x0
	.amdhsa_kernel bluestein_single_back_len1089_dim1_dp_op_CI_CI
		.amdhsa_group_segment_fixed_size 17424
		.amdhsa_private_segment_fixed_size 464
		.amdhsa_kernarg_size 104
		.amdhsa_user_sgpr_count 6
		.amdhsa_user_sgpr_private_segment_buffer 1
		.amdhsa_user_sgpr_dispatch_ptr 0
		.amdhsa_user_sgpr_queue_ptr 0
		.amdhsa_user_sgpr_kernarg_segment_ptr 1
		.amdhsa_user_sgpr_dispatch_id 0
		.amdhsa_user_sgpr_flat_scratch_init 0
		.amdhsa_user_sgpr_private_segment_size 0
		.amdhsa_uses_dynamic_stack 0
		.amdhsa_system_sgpr_private_segment_wavefront_offset 1
		.amdhsa_system_sgpr_workgroup_id_x 1
		.amdhsa_system_sgpr_workgroup_id_y 0
		.amdhsa_system_sgpr_workgroup_id_z 0
		.amdhsa_system_sgpr_workgroup_info 0
		.amdhsa_system_vgpr_workitem_id 0
		.amdhsa_next_free_vgpr 256
		.amdhsa_next_free_sgpr 52
		.amdhsa_reserve_vcc 1
		.amdhsa_reserve_flat_scratch 0
		.amdhsa_float_round_mode_32 0
		.amdhsa_float_round_mode_16_64 0
		.amdhsa_float_denorm_mode_32 3
		.amdhsa_float_denorm_mode_16_64 3
		.amdhsa_dx10_clamp 1
		.amdhsa_ieee_mode 1
		.amdhsa_fp16_overflow 0
		.amdhsa_exception_fp_ieee_invalid_op 0
		.amdhsa_exception_fp_denorm_src 0
		.amdhsa_exception_fp_ieee_div_zero 0
		.amdhsa_exception_fp_ieee_overflow 0
		.amdhsa_exception_fp_ieee_underflow 0
		.amdhsa_exception_fp_ieee_inexact 0
		.amdhsa_exception_int_div_zero 0
	.end_amdhsa_kernel
	.text
.Lfunc_end0:
	.size	bluestein_single_back_len1089_dim1_dp_op_CI_CI, .Lfunc_end0-bluestein_single_back_len1089_dim1_dp_op_CI_CI
                                        ; -- End function
	.section	.AMDGPU.csdata,"",@progbits
; Kernel info:
; codeLenInByte = 21012
; NumSgprs: 56
; NumVgprs: 256
; ScratchSize: 464
; MemoryBound: 0
; FloatMode: 240
; IeeeMode: 1
; LDSByteSize: 17424 bytes/workgroup (compile time only)
; SGPRBlocks: 6
; VGPRBlocks: 63
; NumSGPRsForWavesPerEU: 56
; NumVGPRsForWavesPerEU: 256
; Occupancy: 1
; WaveLimiterHint : 1
; COMPUTE_PGM_RSRC2:SCRATCH_EN: 1
; COMPUTE_PGM_RSRC2:USER_SGPR: 6
; COMPUTE_PGM_RSRC2:TRAP_HANDLER: 0
; COMPUTE_PGM_RSRC2:TGID_X_EN: 1
; COMPUTE_PGM_RSRC2:TGID_Y_EN: 0
; COMPUTE_PGM_RSRC2:TGID_Z_EN: 0
; COMPUTE_PGM_RSRC2:TIDIG_COMP_CNT: 0
	.type	__hip_cuid_89f6156be45cc818,@object ; @__hip_cuid_89f6156be45cc818
	.section	.bss,"aw",@nobits
	.globl	__hip_cuid_89f6156be45cc818
__hip_cuid_89f6156be45cc818:
	.byte	0                               ; 0x0
	.size	__hip_cuid_89f6156be45cc818, 1

	.ident	"AMD clang version 19.0.0git (https://github.com/RadeonOpenCompute/llvm-project roc-6.4.0 25133 c7fe45cf4b819c5991fe208aaa96edf142730f1d)"
	.section	".note.GNU-stack","",@progbits
	.addrsig
	.addrsig_sym __hip_cuid_89f6156be45cc818
	.amdgpu_metadata
---
amdhsa.kernels:
  - .args:
      - .actual_access:  read_only
        .address_space:  global
        .offset:         0
        .size:           8
        .value_kind:     global_buffer
      - .actual_access:  read_only
        .address_space:  global
        .offset:         8
        .size:           8
        .value_kind:     global_buffer
      - .actual_access:  read_only
        .address_space:  global
        .offset:         16
        .size:           8
        .value_kind:     global_buffer
      - .actual_access:  read_only
        .address_space:  global
        .offset:         24
        .size:           8
        .value_kind:     global_buffer
      - .actual_access:  read_only
        .address_space:  global
        .offset:         32
        .size:           8
        .value_kind:     global_buffer
      - .offset:         40
        .size:           8
        .value_kind:     by_value
      - .address_space:  global
        .offset:         48
        .size:           8
        .value_kind:     global_buffer
      - .address_space:  global
        .offset:         56
        .size:           8
        .value_kind:     global_buffer
      - .address_space:  global
        .offset:         64
        .size:           8
        .value_kind:     global_buffer
      - .address_space:  global
        .offset:         72
        .size:           8
        .value_kind:     global_buffer
      - .offset:         80
        .size:           4
        .value_kind:     by_value
      - .address_space:  global
        .offset:         88
        .size:           8
        .value_kind:     global_buffer
      - .address_space:  global
        .offset:         96
        .size:           8
        .value_kind:     global_buffer
    .group_segment_fixed_size: 17424
    .kernarg_segment_align: 8
    .kernarg_segment_size: 104
    .language:       OpenCL C
    .language_version:
      - 2
      - 0
    .max_flat_workgroup_size: 121
    .name:           bluestein_single_back_len1089_dim1_dp_op_CI_CI
    .private_segment_fixed_size: 464
    .sgpr_count:     56
    .sgpr_spill_count: 0
    .symbol:         bluestein_single_back_len1089_dim1_dp_op_CI_CI.kd
    .uniform_work_group_size: 1
    .uses_dynamic_stack: false
    .vgpr_count:     256
    .vgpr_spill_count: 141
    .wavefront_size: 64
amdhsa.target:   amdgcn-amd-amdhsa--gfx906
amdhsa.version:
  - 1
  - 2
...

	.end_amdgpu_metadata
